;; amdgpu-corpus repo=ROCm/aiter kind=compiled arch=gfx1100 opt=O3
	.text
	.amdgcn_target "amdgcn-amd-amdhsa--gfx1100"
	.amdhsa_code_object_version 6
	.section	.text._ZN7ck_tileL11flush_cacheEv,"axG",@progbits,_ZN7ck_tileL11flush_cacheEv,comdat
	.globl	_ZN7ck_tileL11flush_cacheEv     ; -- Begin function _ZN7ck_tileL11flush_cacheEv
	.p2align	8
	.type	_ZN7ck_tileL11flush_cacheEv,@function
_ZN7ck_tileL11flush_cacheEv:            ; @_ZN7ck_tileL11flush_cacheEv
; %bb.0:
	;;#ASMSTART
	s_icache_inv 
	s_nop 0 
	s_nop 0 
	;; [unrolled: 1-line block ×16, first 2 shown]
	
	;;#ASMEND
	s_endpgm
	.section	.rodata,"a",@progbits
	.p2align	6, 0x0
	.amdhsa_kernel _ZN7ck_tileL11flush_cacheEv
		.amdhsa_group_segment_fixed_size 0
		.amdhsa_private_segment_fixed_size 0
		.amdhsa_kernarg_size 0
		.amdhsa_user_sgpr_count 15
		.amdhsa_user_sgpr_dispatch_ptr 0
		.amdhsa_user_sgpr_queue_ptr 0
		.amdhsa_user_sgpr_kernarg_segment_ptr 0
		.amdhsa_user_sgpr_dispatch_id 0
		.amdhsa_user_sgpr_private_segment_size 0
		.amdhsa_wavefront_size32 1
		.amdhsa_uses_dynamic_stack 0
		.amdhsa_enable_private_segment 0
		.amdhsa_system_sgpr_workgroup_id_x 1
		.amdhsa_system_sgpr_workgroup_id_y 0
		.amdhsa_system_sgpr_workgroup_id_z 0
		.amdhsa_system_sgpr_workgroup_info 0
		.amdhsa_system_vgpr_workitem_id 0
		.amdhsa_next_free_vgpr 1
		.amdhsa_next_free_sgpr 1
		.amdhsa_reserve_vcc 0
		.amdhsa_float_round_mode_32 0
		.amdhsa_float_round_mode_16_64 0
		.amdhsa_float_denorm_mode_32 3
		.amdhsa_float_denorm_mode_16_64 3
		.amdhsa_dx10_clamp 1
		.amdhsa_ieee_mode 1
		.amdhsa_fp16_overflow 0
		.amdhsa_workgroup_processor_mode 1
		.amdhsa_memory_ordered 1
		.amdhsa_forward_progress 0
		.amdhsa_shared_vgpr_count 0
		.amdhsa_exception_fp_ieee_invalid_op 0
		.amdhsa_exception_fp_denorm_src 0
		.amdhsa_exception_fp_ieee_div_zero 0
		.amdhsa_exception_fp_ieee_overflow 0
		.amdhsa_exception_fp_ieee_underflow 0
		.amdhsa_exception_fp_ieee_inexact 0
		.amdhsa_exception_int_div_zero 0
	.end_amdhsa_kernel
	.section	.text._ZN7ck_tileL11flush_cacheEv,"axG",@progbits,_ZN7ck_tileL11flush_cacheEv,comdat
.Lfunc_end0:
	.size	_ZN7ck_tileL11flush_cacheEv, .Lfunc_end0-_ZN7ck_tileL11flush_cacheEv
                                        ; -- End function
	.section	.AMDGPU.csdata,"",@progbits
; Kernel info:
; codeLenInByte = 344
; NumSgprs: 0
; NumVgprs: 0
; ScratchSize: 0
; MemoryBound: 0
; FloatMode: 240
; IeeeMode: 1
; LDSByteSize: 0 bytes/workgroup (compile time only)
; SGPRBlocks: 0
; VGPRBlocks: 0
; NumSGPRsForWavesPerEU: 1
; NumVGPRsForWavesPerEU: 1
; Occupancy: 16
; WaveLimiterHint : 0
; COMPUTE_PGM_RSRC2:SCRATCH_EN: 0
; COMPUTE_PGM_RSRC2:USER_SGPR: 15
; COMPUTE_PGM_RSRC2:TRAP_HANDLER: 0
; COMPUTE_PGM_RSRC2:TGID_X_EN: 1
; COMPUTE_PGM_RSRC2:TGID_Y_EN: 0
; COMPUTE_PGM_RSRC2:TGID_Z_EN: 0
; COMPUTE_PGM_RSRC2:TIDIG_COMP_CNT: 0
	.section	.text._ZN5aiter22opus_moe_sorting_entryINS_16MoeSortingKernelINS_19MoeSortingProblemExIifLi8ELb1ELb1ELb1ELb1ELi0EEEEENS4_5KargsEEEvT0_,"axG",@progbits,_ZN5aiter22opus_moe_sorting_entryINS_16MoeSortingKernelINS_19MoeSortingProblemExIifLi8ELb1ELb1ELb1ELb1ELi0EEEEENS4_5KargsEEEvT0_,comdat
	.protected	_ZN5aiter22opus_moe_sorting_entryINS_16MoeSortingKernelINS_19MoeSortingProblemExIifLi8ELb1ELb1ELb1ELb1ELi0EEEEENS4_5KargsEEEvT0_ ; -- Begin function _ZN5aiter22opus_moe_sorting_entryINS_16MoeSortingKernelINS_19MoeSortingProblemExIifLi8ELb1ELb1ELb1ELb1ELi0EEEEENS4_5KargsEEEvT0_
	.globl	_ZN5aiter22opus_moe_sorting_entryINS_16MoeSortingKernelINS_19MoeSortingProblemExIifLi8ELb1ELb1ELb1ELb1ELi0EEEEENS4_5KargsEEEvT0_
	.p2align	8
	.type	_ZN5aiter22opus_moe_sorting_entryINS_16MoeSortingKernelINS_19MoeSortingProblemExIifLi8ELb1ELb1ELb1ELb1ELi0EEEEENS4_5KargsEEEvT0_,@function
_ZN5aiter22opus_moe_sorting_entryINS_16MoeSortingKernelINS_19MoeSortingProblemExIifLi8ELb1ELb1ELb1ELb1ELi0EEEEENS4_5KargsEEEvT0_: ; @_ZN5aiter22opus_moe_sorting_entryINS_16MoeSortingKernelINS_19MoeSortingProblemExIifLi8ELb1ELb1ELb1ELb1ELi0EEEEENS4_5KargsEEEvT0_
; %bb.0:
	s_clause 0x2
	s_load_b512 s[16:31], s[0:1], 0x0
	s_load_b128 s[8:11], s[0:1], 0x40
	s_load_b128 s[44:47], s[0:1], 0x54
	s_cmp_eq_u32 s15, 0
	s_waitcnt lgkmcnt(0)
	s_load_b32 s12, s[22:23], 0x0
	s_cbranch_scc1 .LBB1_7
; %bb.1:
	s_cmp_eq_u64 s[8:9], 0
	s_cbranch_scc1 .LBB1_6
; %bb.2:
	s_waitcnt lgkmcnt(0)
	s_ashr_i32 s2, s12, 31
	s_mul_i32 s3, s46, s45
	s_mul_hi_i32 s5, s46, s45
	s_mul_i32 s2, s3, s2
	s_mul_hi_u32 s4, s3, s12
	s_mul_i32 s5, s5, s12
	s_add_i32 s2, s4, s2
	s_mul_i32 s3, s3, s12
	s_add_i32 s4, s2, s5
	v_mov_b32_e32 v2, 0
	s_ashr_i32 s2, s4, 31
	s_mov_b32 s7, 0
	s_lshr_b32 s2, s2, 28
	s_delay_alu instid0(SALU_CYCLE_1) | instskip(SKIP_2) | instid1(SALU_CYCLE_1)
	s_add_u32 s2, s3, s2
	s_addc_u32 s3, s4, 0
	s_lshl_b32 s4, s15, 8
	v_add3_u32 v1, v0, s4, 0xffffff00
	s_ashr_i64 s[4:5], s[2:3], 4
	s_mov_b32 s3, exec_lo
	s_delay_alu instid0(VALU_DEP_1)
	v_cmpx_gt_i64_e64 s[4:5], v[1:2]
	s_cbranch_execz .LBB1_5
; %bb.3:
	s_load_b32 s2, s[0:1], 0x90
	v_lshlrev_b64 v[3:4], 4, v[1:2]
	v_dual_mov_b32 v6, v2 :: v_dual_mov_b32 v5, v1
	v_mov_b32_e32 v1, v2
	s_delay_alu instid0(VALU_DEP_3) | instskip(NEXT) | instid1(VALU_DEP_4)
	v_add_co_u32 v7, vcc_lo, s8, v3
	v_add_co_ci_u32_e32 v8, vcc_lo, s9, v4, vcc_lo
	v_mov_b32_e32 v3, v2
	v_mov_b32_e32 v4, v2
	s_waitcnt lgkmcnt(0)
	s_lshl_b32 s2, s2, 8
	s_delay_alu instid0(SALU_CYCLE_1) | instskip(NEXT) | instid1(SALU_CYCLE_1)
	s_add_i32 s6, s2, 0xffffff00
	s_lshl_b64 s[8:9], s[6:7], 4
.LBB1_4:                                ; =>This Inner Loop Header: Depth=1
	v_add_co_u32 v5, vcc_lo, v5, s6
	v_add_co_ci_u32_e32 v6, vcc_lo, 0, v6, vcc_lo
	global_store_b128 v[7:8], v[1:4], off
	v_add_co_u32 v7, s2, v7, s8
	v_cmp_le_i64_e32 vcc_lo, s[4:5], v[5:6]
	v_add_co_ci_u32_e64 v8, s2, s9, v8, s2
	s_or_b32 s7, vcc_lo, s7
	s_delay_alu instid0(SALU_CYCLE_1)
	s_and_not1_b32 exec_lo, exec_lo, s7
	s_cbranch_execnz .LBB1_4
.LBB1_5:
	s_or_b32 exec_lo, exec_lo, s3
.LBB1_6:
	s_cbranch_execz .LBB1_8
	s_branch .LBB1_77
.LBB1_7:
.LBB1_8:
	s_clause 0x1
	s_load_b256 s[36:43], s[0:1], 0x64
	s_load_b64 s[0:1], s[0:1], 0x84
	v_lshrrev_b32_e32 v1, 5, v0
	s_add_i32 s6, s44, 1
	s_mov_b32 s8, exec_lo
	s_delay_alu instid0(VALU_DEP_1) | instskip(SKIP_2) | instid1(SALU_CYCLE_1)
	v_readfirstlane_b32 s22, v1
	s_waitcnt lgkmcnt(0)
	s_add_i32 s13, s36, -2
	s_mul_i32 s7, s13, s44
	s_delay_alu instid0(SALU_CYCLE_1)
	v_cmpx_gt_i32_e64 s7, v0
	s_cbranch_execz .LBB1_11
; %bb.9:
	v_dual_mov_b32 v4, 0 :: v_dual_lshlrev_b32 v3, 2, v0
	s_lshl_b32 s2, s44, 3
	v_mad_u64_u32 v[1:2], null, v0, s0, 0
	s_add_i32 s2, s2, 0
	v_mov_b32_e32 v5, v0
	v_add3_u32 v3, s2, v3, 8
	s_mov_b32 s3, 0
	s_sub_i32 s4, s6, s43
	s_mov_b32 s2, s0
	s_lshl_b32 s9, s4, 2
	s_lshl_b64 s[4:5], s[2:3], 8
	.p2align	6
.LBB1_10:                               ; =>This Inner Loop Header: Depth=1
	v_add_nc_u32_e32 v6, v5, v2
	v_add_nc_u32_e32 v5, 0x100, v5
	v_add_co_u32 v1, vcc_lo, v1, s4
	v_add_co_ci_u32_e32 v2, vcc_lo, s5, v2, vcc_lo
	s_delay_alu instid0(VALU_DEP_4) | instskip(NEXT) | instid1(VALU_DEP_4)
	v_lshrrev_b32_e32 v8, s1, v6
	v_cmp_le_i32_e64 s0, s7, v5
	s_delay_alu instid0(VALU_DEP_2) | instskip(SKIP_1) | instid1(VALU_DEP_3)
	v_mad_u64_u32 v[6:7], null, s9, v8, v[3:4]
	v_add_nc_u32_e32 v3, 0x400, v3
	s_or_b32 s3, s0, s3
	ds_store_b32 v6, v4
	s_and_not1_b32 exec_lo, exec_lo, s3
	s_cbranch_execnz .LBB1_10
.LBB1_11:
	s_or_b32 exec_lo, exec_lo, s8
	s_cmp_gt_i32 s12, 0
	s_mov_b32 s3, 0
	s_cselect_b32 s15, -1, 0
	s_cmp_lt_i32 s12, 1
	s_mul_i32 s14, s40, s13
	s_waitcnt lgkmcnt(0)
	s_waitcnt_vscnt null, 0x0
	s_barrier
	buffer_gl0_inv
	s_cbranch_scc1 .LBB1_19
; %bb.12:
	v_mad_u64_u32 v[1:2], null, v0, s41, 0
	v_cmp_gt_i32_e32 vcc_lo, s14, v0
	v_mov_b32_e32 v4, 0
	s_lshl_b32 s0, s6, 3
	s_mov_b32 s2, s41
	s_add_i32 s7, s0, 0
	s_sub_i32 s8, 0, s40
	s_lshl_b64 s[4:5], s[2:3], 8
	s_mov_b32 s2, 0
	s_branch .LBB1_14
.LBB1_13:                               ;   in Loop: Header=BB1_14 Depth=1
	s_set_inst_prefetch_distance 0x2
	s_or_b32 exec_lo, exec_lo, s9
	s_add_i32 s2, s2, s13
	s_add_i32 s3, s3, s14
	s_cmp_ge_i32 s2, s12
	s_waitcnt lgkmcnt(0)
	s_barrier
	buffer_gl0_inv
	s_cbranch_scc1 .LBB1_19
.LBB1_14:                               ; =>This Loop Header: Depth=1
                                        ;     Child Loop BB1_17 Depth 2
	s_and_saveexec_b32 s9, vcc_lo
	s_cbranch_execz .LBB1_13
; %bb.15:                               ;   in Loop: Header=BB1_14 Depth=1
	v_dual_mov_b32 v6, v2 :: v_dual_mov_b32 v5, v1
	v_mov_b32_e32 v7, v0
	s_mov_b32 s23, 0
	s_set_inst_prefetch_distance 0x1
	s_branch .LBB1_17
	.p2align	6
.LBB1_16:                               ;   in Loop: Header=BB1_17 Depth=2
	s_or_b32 exec_lo, exec_lo, s1
	v_add_nc_u32_e32 v7, 0x100, v7
	v_add_co_u32 v5, s1, v5, s4
	s_delay_alu instid0(VALU_DEP_1) | instskip(NEXT) | instid1(VALU_DEP_3)
	v_add_co_ci_u32_e64 v6, s1, s5, v6, s1
	v_cmp_le_i32_e64 s0, s14, v7
	s_waitcnt vmcnt(48) lgkmcnt(7)
	s_delay_alu instid0(VALU_DEP_1) | instskip(NEXT) | instid1(SALU_CYCLE_1)
	s_or_b32 s23, s0, s23
	s_and_not1_b32 exec_lo, exec_lo, s23
	s_cbranch_execz .LBB1_13
.LBB1_17:                               ;   Parent Loop BB1_14 Depth=1
                                        ; =>  This Inner Loop Header: Depth=2
	s_delay_alu instid0(VALU_DEP_1) | instskip(SKIP_1) | instid1(VALU_DEP_1)
	v_add_nc_u32_e32 v3, v7, v6
	s_mov_b32 s1, exec_lo
	v_lshrrev_b32_e32 v8, s42, v3
	s_delay_alu instid0(VALU_DEP_1) | instskip(NEXT) | instid1(VALU_DEP_1)
	v_add_nc_u32_e32 v3, s2, v8
	v_cmpx_gt_i32_e64 s12, v3
	s_cbranch_execz .LBB1_16
; %bb.18:                               ;   in Loop: Header=BB1_17 Depth=2
	v_add_nc_u32_e32 v3, s3, v7
	s_delay_alu instid0(VALU_DEP_1) | instskip(NEXT) | instid1(VALU_DEP_1)
	v_lshlrev_b64 v[9:10], 2, v[3:4]
	v_add_co_u32 v9, s0, s16, v9
	s_delay_alu instid0(VALU_DEP_1) | instskip(SKIP_3) | instid1(VALU_DEP_2)
	v_add_co_ci_u32_e64 v10, s0, s17, v10, s0
	global_load_b32 v3, v[9:10], off
	v_mul_lo_u32 v9, v8, s6
	v_mul_lo_u32 v8, s8, v8
	v_lshlrev_b32_e32 v9, 2, v9
	s_delay_alu instid0(VALU_DEP_2) | instskip(SKIP_2) | instid1(VALU_DEP_1)
	v_add3_u32 v8, v7, v8, 1
	s_waitcnt vmcnt(0)
	v_lshlrev_b32_e32 v3, 2, v3
	v_add3_u32 v3, s7, v3, v9
	ds_store_b32 v3, v8
	s_branch .LBB1_16
.LBB1_19:
	s_mov_b32 s0, exec_lo
	v_cmpx_eq_u32_e32 0, v0
	s_cbranch_execz .LBB1_21
; %bb.20:
	v_mov_b32_e32 v1, 0
	ds_store_b32 v1, v1
.LBB1_21:
	s_or_b32 exec_lo, exec_lo, s0
	v_and_b32_e32 v7, 7, v0
	v_lshrrev_b32_e32 v8, 3, v0
	v_mbcnt_lo_u32_b32 v11, -1, 0
	s_mov_b32 s33, 0
	s_delay_alu instid0(VALU_DEP_3) | instskip(NEXT) | instid1(VALU_DEP_3)
	v_mul_lo_u32 v1, s6, v7
	v_cmp_gt_i32_e64 s0, s44, v8
	v_lshlrev_b32_e32 v10, 2, v8
	s_delay_alu instid0(VALU_DEP_3) | instskip(NEXT) | instid1(VALU_DEP_3)
	v_lshlrev_b32_e32 v9, 2, v1
	s_and_saveexec_b32 s23, s0
	s_cbranch_execz .LBB1_29
; %bb.22:
	s_cmp_gt_i32 s36, 2
	v_lshlrev_b32_e32 v3, 2, v11
	s_cselect_b32 s34, -1, 0
	s_lshl_b32 s1, s44, 3
	v_mov_b32_e32 v5, v8
	v_add3_u32 v4, v9, s1, v10
	v_cmp_eq_u32_e64 s1, 0, v7
	v_xor_b32_e32 v1, 4, v3
	v_xor_b32_e32 v2, 8, v3
	;; [unrolled: 1-line block ×3, first 2 shown]
	v_add3_u32 v4, v4, 0, 8
	s_lshl_b32 s36, s44, 8
	s_lshl_b32 s35, s44, 5
	s_addk_i32 s36, 0x100
	s_add_i32 s41, s35, 32
	s_branch .LBB1_24
.LBB1_23:                               ;   in Loop: Header=BB1_24 Depth=1
	s_or_b32 exec_lo, exec_lo, s2
	v_add_nc_u32_e32 v5, 32, v5
	v_add_nc_u32_e32 v4, 0x80, v4
	s_delay_alu instid0(VALU_DEP_2) | instskip(SKIP_1) | instid1(SALU_CYCLE_1)
	v_cmp_le_i32_e32 vcc_lo, s44, v5
	s_or_b32 s33, vcc_lo, s33
	s_and_not1_b32 exec_lo, exec_lo, s33
	s_cbranch_execz .LBB1_29
.LBB1_24:                               ; =>This Loop Header: Depth=1
                                        ;     Child Loop BB1_26 Depth 2
	v_mov_b32_e32 v6, 0
	s_and_not1_b32 vcc_lo, exec_lo, s34
	s_cbranch_vccnz .LBB1_27
; %bb.25:                               ;   in Loop: Header=BB1_24 Depth=1
	v_mov_b32_e32 v6, 0
	v_mov_b32_e32 v12, v4
	s_mov_b32 s42, 0
.LBB1_26:                               ;   Parent Loop BB1_24 Depth=1
                                        ; =>  This Inner Loop Header: Depth=2
	s_delay_alu instid0(VALU_DEP_1) | instskip(SKIP_2) | instid1(SALU_CYCLE_1)
	v_add_nc_u32_e32 v13, s35, v12
	ds_load_b32 v14, v12
	s_add_i32 s42, s42, 64
	s_cmp_lt_i32 s42, s13
	v_add_nc_u32_e32 v15, s41, v13
	ds_load_b32 v13, v13 offset:32
	v_add_nc_u32_e32 v16, s41, v15
	ds_load_b32 v15, v15 offset:32
	;; [unrolled: 2-line block ×3, first 2 shown]
	v_add_nc_u32_e32 v12, s36, v12
	v_add_nc_u32_e32 v18, s41, v17
	s_waitcnt lgkmcnt(3)
	v_cmp_ne_u32_e32 vcc_lo, 0, v14
	ds_load_b32 v17, v17 offset:32
	ds_load_b32 v19, v18 offset:32
	v_add_nc_u32_e32 v18, s41, v18
	v_cndmask_b32_e64 v14, 0, 1, vcc_lo
	s_waitcnt lgkmcnt(4)
	v_cmp_ne_u32_e64 s2, 0, v13
	ds_load_b32 v20, v18 offset:32
	ds_bpermute_b32 v14, v1, v14
	v_cndmask_b32_e64 v13, 0, 1, s2
	s_waitcnt lgkmcnt(5)
	v_cmp_ne_u32_e64 s3, 0, v15
	v_add_nc_u32_e32 v18, s41, v18
	s_waitcnt lgkmcnt(4)
	v_cmp_ne_u32_e64 s4, 0, v16
	ds_bpermute_b32 v13, v1, v13
	v_cndmask_b32_e64 v15, 0, 1, s3
	ds_load_b32 v18, v18 offset:32
	v_cndmask_b32_e64 v16, 0, 1, s4
	ds_bpermute_b32 v15, v1, v15
	s_waitcnt lgkmcnt(6)
	v_cmp_ne_u32_e64 s5, 0, v17
	ds_bpermute_b32 v16, v1, v16
	v_cndmask_b32_e64 v17, 0, 1, s5
	s_waitcnt lgkmcnt(4)
	v_add_co_ci_u32_e64 v21, s6, 0, v14, vcc_lo
	v_cmp_ne_u32_e64 s6, 0, v19
	ds_bpermute_b32 v17, v1, v17
	ds_bpermute_b32 v21, v2, v21
	s_waitcnt lgkmcnt(5)
	v_add_co_ci_u32_e64 v22, s7, 0, v13, s2
	v_cndmask_b32_e64 v19, 0, 1, s6
	v_cmp_ne_u32_e64 s7, 0, v20
	ds_bpermute_b32 v22, v2, v22
	s_waitcnt lgkmcnt(4)
	v_add_co_ci_u32_e64 v23, s8, 0, v15, s3
	v_cndmask_b32_e64 v20, 0, 1, s7
	ds_bpermute_b32 v19, v1, v19
	v_cmp_ne_u32_e64 s8, 0, v18
	ds_bpermute_b32 v23, v2, v23
	s_waitcnt lgkmcnt(5)
	v_add_co_ci_u32_e64 v24, s9, 0, v16, s4
	ds_bpermute_b32 v20, v1, v20
	v_cndmask_b32_e64 v18, 0, 1, s8
	s_waitcnt lgkmcnt(5)
	v_add_co_ci_u32_e64 v25, s9, 0, v17, s5
	ds_bpermute_b32 v24, v2, v24
	ds_bpermute_b32 v18, v1, v18
	s_waitcnt lgkmcnt(6)
	v_add_co_ci_u32_e32 v14, vcc_lo, v21, v14, vcc_lo
	ds_bpermute_b32 v21, v2, v25
	s_waitcnt lgkmcnt(6)
	v_add_co_ci_u32_e64 v13, vcc_lo, v22, v13, s2
	ds_bpermute_b32 v22, v3, v14
	s_waitcnt lgkmcnt(6)
	v_add_co_ci_u32_e64 v25, vcc_lo, 0, v19, s6
	ds_bpermute_b32 v27, v3, v13
	s_waitcnt lgkmcnt(6)
	v_add_co_ci_u32_e64 v15, vcc_lo, v23, v15, s3
	s_waitcnt lgkmcnt(5)
	v_add_co_ci_u32_e64 v26, vcc_lo, 0, v20, s7
	ds_bpermute_b32 v25, v2, v25
	ds_bpermute_b32 v28, v3, v15
	;; [unrolled: 1-line block ×3, first 2 shown]
	s_waitcnt lgkmcnt(6)
	v_add_co_ci_u32_e64 v26, vcc_lo, 0, v18, s8
	v_add_co_ci_u32_e64 v16, vcc_lo, v24, v16, s4
	s_waitcnt lgkmcnt(5)
	v_add_co_ci_u32_e64 v17, vcc_lo, v21, v17, s5
	ds_bpermute_b32 v24, v2, v26
	ds_bpermute_b32 v21, v3, v16
	s_waitcnt lgkmcnt(6)
	v_add3_u32 v6, v14, v6, v22
	ds_bpermute_b32 v14, v3, v17
	s_waitcnt lgkmcnt(6)
	v_add3_u32 v6, v6, v13, v27
	s_waitcnt lgkmcnt(5)
	v_add_co_ci_u32_e64 v19, vcc_lo, v25, v19, s6
	s_waitcnt lgkmcnt(4)
	s_delay_alu instid0(VALU_DEP_2)
	v_add3_u32 v6, v6, v15, v28
	s_waitcnt lgkmcnt(3)
	v_add_co_ci_u32_e64 v13, vcc_lo, v23, v20, s7
	ds_bpermute_b32 v20, v3, v19
	ds_bpermute_b32 v15, v3, v13
	s_waitcnt lgkmcnt(4)
	v_add_co_ci_u32_e64 v18, vcc_lo, v24, v18, s8
	s_waitcnt lgkmcnt(3)
	v_add3_u32 v6, v6, v16, v21
	ds_bpermute_b32 v16, v3, v18
	s_waitcnt lgkmcnt(3)
	v_add3_u32 v6, v6, v17, v14
	s_waitcnt lgkmcnt(2)
	s_delay_alu instid0(VALU_DEP_1) | instskip(SKIP_1) | instid1(VALU_DEP_1)
	v_add3_u32 v6, v6, v19, v20
	s_waitcnt lgkmcnt(1)
	v_add3_u32 v6, v6, v13, v15
	s_waitcnt lgkmcnt(0)
	s_delay_alu instid0(VALU_DEP_1)
	v_add3_u32 v6, v6, v18, v16
	s_cbranch_scc1 .LBB1_26
.LBB1_27:                               ;   in Loop: Header=BB1_24 Depth=1
	s_and_saveexec_b32 s2, s1
	s_cbranch_execz .LBB1_23
; %bb.28:                               ;   in Loop: Header=BB1_24 Depth=1
	v_lshl_add_u32 v12, v5, 2, 0
	ds_store_b32 v12, v6 offset:4
	s_branch .LBB1_23
.LBB1_29:
	s_or_b32 exec_lo, exec_lo, s23
	s_lshl_b32 s4, s44, 2
	v_cmp_gt_i32_e64 s1, s44, v0
	s_add_i32 s6, s4, 0
	s_delay_alu instid0(SALU_CYCLE_1)
	v_dual_mov_b32 v1, 0 :: v_dual_mov_b32 v2, s6
	s_mov_b32 s3, 0
	ds_store_b32 v2, v1 offset:4
	s_and_saveexec_b32 s5, s1
	s_cbranch_execz .LBB1_32
; %bb.30:
	v_dual_mov_b32 v4, v0 :: v_dual_lshlrev_b32 v1, 2, v0
	s_delay_alu instid0(VALU_DEP_1) | instskip(SKIP_1) | instid1(VALU_DEP_1)
	v_add3_u32 v3, s6, v1, 8
	v_add_co_u32 v1, s2, s20, v1
	v_add_co_ci_u32_e64 v2, null, s21, 0, s2
	.p2align	6
.LBB1_31:                               ; =>This Inner Loop Header: Depth=1
	global_load_b32 v5, v[1:2], off
	v_add_nc_u32_e32 v4, 0x100, v4
	v_add_co_u32 v1, vcc_lo, 0x400, v1
	v_add_co_ci_u32_e32 v2, vcc_lo, 0, v2, vcc_lo
	s_delay_alu instid0(VALU_DEP_3) | instskip(NEXT) | instid1(VALU_DEP_1)
	v_cmp_le_i32_e64 s2, s44, v4
	s_or_b32 s3, s2, s3
	s_waitcnt vmcnt(0)
	ds_store_b32 v3, v5
	v_add_nc_u32_e32 v3, 0x400, v3
	s_and_not1_b32 exec_lo, exec_lo, s3
	s_cbranch_execnz .LBB1_31
.LBB1_32:
	s_or_b32 exec_lo, exec_lo, s5
	s_add_i32 s5, s6, 4
	s_cmp_lg_u32 s22, 0
	s_mov_b32 s7, 0
	s_waitcnt lgkmcnt(0)
	s_barrier
	buffer_gl0_inv
	s_cbranch_scc1 .LBB1_43
; %bb.33:
	v_mov_b32_e32 v1, 0
	s_cmp_lt_i32 s44, 1
	s_cbranch_scc1 .LBB1_40
; %bb.34:
	v_lshlrev_b32_e32 v1, 2, v11
	v_cmp_eq_u32_e32 vcc_lo, 0, v11
	v_cmp_lt_u32_e64 s2, 15, v11
	s_add_i32 s8, s37, -1
	s_delay_alu instid0(VALU_DEP_3) | instskip(SKIP_1) | instid1(VALU_DEP_2)
	v_and_b32_e32 v2, 64, v1
	v_add_nc_u32_e32 v3, 0, v1
	v_add_nc_u32_e32 v2, -4, v2
	s_branch .LBB1_36
.LBB1_35:                               ;   in Loop: Header=BB1_36 Depth=1
	s_or_b32 exec_lo, exec_lo, s9
	v_add_nc_u32_e32 v3, 0x80, v3
	s_add_i32 s7, s7, 32
	s_waitcnt vmcnt(48) lgkmcnt(7)
	s_cmp_lt_i32 s7, s44
	s_cbranch_scc0 .LBB1_40
.LBB1_36:                               ; =>This Inner Loop Header: Depth=1
	ds_load_b32 v1, v3 offset:4
	v_add_nc_u32_e32 v4, s4, v3
	s_waitcnt lgkmcnt(1)
	v_cndmask_b32_e64 v6, 0, s7, vcc_lo
	ds_load_b32 v5, v4 offset:8
	v_lshlrev_b32_e32 v6, 2, v6
	s_delay_alu instid0(VALU_DEP_1) | instskip(SKIP_4) | instid1(VALU_DEP_1)
	v_add_nc_u32_e32 v13, 0, v6
	v_add_nc_u32_e32 v6, s5, v6
	ds_load_b32 v6, v6
	s_waitcnt lgkmcnt(2)
	v_add_nc_u32_e32 v1, s8, v1
	v_mul_hi_u32 v12, v1, s38
	s_waitcnt lgkmcnt(1)
	v_cmp_ne_u32_e64 s3, 0, v5
	s_delay_alu instid0(VALU_DEP_2) | instskip(SKIP_3) | instid1(VALU_DEP_1)
	v_add_nc_u32_e32 v1, v1, v12
	ds_load_b32 v12, v13
	v_add_nc_u32_e32 v13, s7, v11
	v_lshrrev_b32_e32 v1, s39, v1
	v_mul_lo_u32 v1, v1, s37
	s_delay_alu instid0(VALU_DEP_1) | instskip(NEXT) | instid1(VALU_DEP_4)
	v_cndmask_b32_e64 v1, 0, v1, s3
	v_cmp_gt_i32_e64 s3, s44, v13
	s_waitcnt lgkmcnt(0)
	s_delay_alu instid0(VALU_DEP_2) | instskip(NEXT) | instid1(VALU_DEP_1)
	v_add_nc_u32_e32 v1, v1, v12
	v_add_nc_u32_dpp v1, v1, v1 row_shr:1 row_mask:0xf bank_mask:0xf bound_ctrl:1
	s_delay_alu instid0(VALU_DEP_1) | instskip(NEXT) | instid1(VALU_DEP_1)
	v_add_nc_u32_dpp v1, v1, v1 row_shr:2 row_mask:0xf bank_mask:0xf bound_ctrl:1
	v_add_nc_u32_dpp v1, v1, v1 row_shr:4 row_mask:0xf bank_mask:0xf bound_ctrl:1
	s_delay_alu instid0(VALU_DEP_1) | instskip(SKIP_3) | instid1(VALU_DEP_1)
	v_add_nc_u32_dpp v1, v1, v1 row_shr:8 row_mask:0xf bank_mask:0xf bound_ctrl:1
	ds_bpermute_b32 v12, v2, v1
	s_waitcnt lgkmcnt(0)
	v_cndmask_b32_e64 v12, 0, v12, s2
	v_add_nc_u32_e32 v1, v1, v12
	s_and_saveexec_b32 s9, s3
	s_cbranch_execz .LBB1_38
; %bb.37:                               ;   in Loop: Header=BB1_36 Depth=1
	ds_store_b32 v3, v1 offset:4
.LBB1_38:                               ;   in Loop: Header=BB1_36 Depth=1
	s_or_b32 exec_lo, exec_lo, s9
	v_add_nc_u32_e32 v5, v5, v6
	s_delay_alu instid0(VALU_DEP_1) | instskip(NEXT) | instid1(VALU_DEP_1)
	v_add_nc_u32_dpp v5, v5, v5 row_shr:1 row_mask:0xf bank_mask:0xf bound_ctrl:1
	v_add_nc_u32_dpp v5, v5, v5 row_shr:2 row_mask:0xf bank_mask:0xf bound_ctrl:1
	s_delay_alu instid0(VALU_DEP_1) | instskip(NEXT) | instid1(VALU_DEP_1)
	v_add_nc_u32_dpp v5, v5, v5 row_shr:4 row_mask:0xf bank_mask:0xf bound_ctrl:1
	v_add_nc_u32_dpp v5, v5, v5 row_shr:8 row_mask:0xf bank_mask:0xf bound_ctrl:1
	ds_bpermute_b32 v6, v2, v5
	s_and_saveexec_b32 s9, s3
	s_cbranch_execz .LBB1_35
; %bb.39:                               ;   in Loop: Header=BB1_36 Depth=1
	s_waitcnt lgkmcnt(0)
	v_cndmask_b32_e64 v6, 0, v6, s2
	s_delay_alu instid0(VALU_DEP_1)
	v_add_nc_u32_e32 v5, v6, v5
	ds_store_b32 v4, v5 offset:8
	s_branch .LBB1_35
.LBB1_40:
	v_add3_u32 v2, v11, s7, 0xffffffe1
	s_mov_b32 s2, exec_lo
	s_delay_alu instid0(VALU_DEP_1)
	v_cmpx_eq_u32_e64 s44, v2
	s_cbranch_execz .LBB1_42
; %bb.41:
	v_dual_mov_b32 v3, 0 :: v_dual_mov_b32 v2, s12
	global_store_b64 v3, v[1:2], s[30:31]
.LBB1_42:
	s_or_b32 exec_lo, exec_lo, s2
.LBB1_43:
	s_cmp_eq_u64 s[10:11], 0
	s_waitcnt lgkmcnt(0)
	s_waitcnt_vscnt null, 0x0
	s_barrier
	buffer_gl0_inv
	s_cbranch_scc1 .LBB1_50
; %bb.44:
	s_mul_i32 s3, s12, s40
	s_mov_b32 s7, exec_lo
	v_cmpx_gt_i32_e64 s3, v0
	s_cbranch_execz .LBB1_49
; %bb.45:
	v_dual_mov_b32 v12, v0 :: v_dual_lshlrev_b32 v3, 2, v0
	s_mov_b32 s8, 0
	s_delay_alu instid0(VALU_DEP_1) | instskip(NEXT) | instid1(VALU_DEP_1)
	v_add_co_u32 v1, s2, s16, v3
	v_add_co_ci_u32_e64 v2, null, s17, 0, s2
	v_add_co_u32 v3, s2, s10, v3
	s_delay_alu instid0(VALU_DEP_1)
	v_add_co_ci_u32_e64 v4, null, s11, 0, s2
	s_set_inst_prefetch_distance 0x1
	s_branch .LBB1_47
	.p2align	6
.LBB1_46:                               ;   in Loop: Header=BB1_47 Depth=1
	s_or_b32 exec_lo, exec_lo, s2
	v_add_nc_u32_e32 v12, 0x100, v12
	v_add_co_u32 v1, vcc_lo, 0x400, v1
	v_add_co_ci_u32_e32 v2, vcc_lo, 0, v2, vcc_lo
	s_waitcnt lgkmcnt(0)
	global_store_b32 v[3:4], v6, off
	v_cmp_le_i32_e32 vcc_lo, s3, v12
	v_add_co_u32 v3, s2, 0x400, v3
	s_delay_alu instid0(VALU_DEP_1) | instskip(SKIP_1) | instid1(SALU_CYCLE_1)
	v_add_co_ci_u32_e64 v4, s2, 0, v4, s2
	s_or_b32 s8, vcc_lo, s8
	s_and_not1_b32 exec_lo, exec_lo, s8
	s_cbranch_execz .LBB1_49
.LBB1_47:                               ; =>This Inner Loop Header: Depth=1
	global_load_b32 v5, v[1:2], off
	s_waitcnt vmcnt(0)
	v_ashrrev_i32_e32 v6, 31, v5
	s_delay_alu instid0(VALU_DEP_1) | instskip(NEXT) | instid1(VALU_DEP_1)
	v_lshlrev_b64 v[13:14], 2, v[5:6]
	v_add_co_u32 v13, vcc_lo, s20, v13
	s_delay_alu instid0(VALU_DEP_2)
	v_add_co_ci_u32_e32 v14, vcc_lo, s21, v14, vcc_lo
	global_load_b32 v6, v[13:14], off
	s_waitcnt vmcnt(0)
	v_cmp_ne_u32_e32 vcc_lo, 0, v6
	v_mov_b32_e32 v6, -1
	s_and_saveexec_b32 s2, vcc_lo
	s_cbranch_execz .LBB1_46
; %bb.48:                               ;   in Loop: Header=BB1_47 Depth=1
	v_lshl_add_u32 v5, v5, 2, s5
	ds_load_b32 v6, v5
	s_branch .LBB1_46
.LBB1_49:
	s_set_inst_prefetch_distance 0x2
	s_or_b32 exec_lo, exec_lo, s7
	s_waitcnt_vscnt null, 0x0
	s_barrier
	buffer_gl0_inv
.LBB1_50:
	s_and_saveexec_b32 s3, s1
	s_cbranch_execz .LBB1_57
; %bb.51:
	v_dual_mov_b32 v2, 0 :: v_dual_mov_b32 v3, v0
	s_mov_b32 s7, 0
	s_branch .LBB1_53
.LBB1_52:                               ;   in Loop: Header=BB1_53 Depth=1
	s_or_b32 exec_lo, exec_lo, s8
	v_add_nc_u32_e32 v3, 0x100, v3
	s_delay_alu instid0(VALU_DEP_1) | instskip(SKIP_1) | instid1(SALU_CYCLE_1)
	v_cmp_le_i32_e32 vcc_lo, s44, v3
	s_or_b32 s7, vcc_lo, s7
	s_and_not1_b32 exec_lo, exec_lo, s7
	s_cbranch_execz .LBB1_57
.LBB1_53:                               ; =>This Loop Header: Depth=1
                                        ;     Child Loop BB1_56 Depth 2
	s_delay_alu instid0(VALU_DEP_1) | instskip(SKIP_1) | instid1(VALU_DEP_1)
	v_lshlrev_b32_e32 v1, 2, v3
	s_mov_b32 s8, exec_lo
	v_add_nc_u32_e32 v4, 0, v1
	v_add_nc_u32_e32 v1, s5, v1
	ds_load_2addr_b32 v[5:6], v4 offset1:1
	s_waitcnt lgkmcnt(2)
	ds_load_b32 v12, v1
	s_waitcnt lgkmcnt(1)
	ds_store_b32 v1, v5
	v_cmpx_ne_u32_e64 v5, v6
	s_cbranch_execz .LBB1_52
; %bb.54:                               ;   in Loop: Header=BB1_53 Depth=1
	v_mov_b32_e32 v4, v2
	v_cmp_lt_i32_e64 s2, v5, v6
	s_delay_alu instid0(VALU_DEP_2) | instskip(NEXT) | instid1(VALU_DEP_1)
	v_lshlrev_b64 v[13:14], 2, v[3:4]
	v_add_co_u32 v13, vcc_lo, s20, v13
	s_delay_alu instid0(VALU_DEP_2) | instskip(SKIP_4) | instid1(SALU_CYCLE_1)
	v_add_co_ci_u32_e32 v14, vcc_lo, s21, v14, vcc_lo
	global_load_b32 v1, v[13:14], off
	s_waitcnt vmcnt(0)
	v_cmp_ne_u32_e32 vcc_lo, 0, v1
	s_and_b32 s2, s2, vcc_lo
	s_and_b32 exec_lo, exec_lo, s2
	s_cbranch_execz .LBB1_52
; %bb.55:                               ;   in Loop: Header=BB1_53 Depth=1
	s_mov_b32 s9, 0
	.p2align	6
.LBB1_56:                               ;   Parent Loop BB1_53 Depth=1
                                        ; =>  This Inner Loop Header: Depth=2
	v_mul_hi_u32 v1, s38, v5
	s_delay_alu instid0(VALU_DEP_1) | instskip(SKIP_1) | instid1(VALU_DEP_2)
	v_add_nc_u32_e32 v1, v5, v1
	v_add_nc_u32_e32 v5, s37, v5
	v_lshrrev_b32_e32 v1, s39, v1
	s_delay_alu instid0(VALU_DEP_2) | instskip(NEXT) | instid1(VALU_DEP_2)
	v_cmp_ge_i32_e32 vcc_lo, v5, v6
	v_lshlrev_b64 v[13:14], 2, v[1:2]
	s_or_b32 s9, vcc_lo, s9
	s_delay_alu instid0(VALU_DEP_1) | instskip(NEXT) | instid1(VALU_DEP_1)
	v_add_co_u32 v13, s2, s28, v13
	v_add_co_ci_u32_e64 v14, s2, s29, v14, s2
	s_waitcnt lgkmcnt(1)
	global_store_b32 v[13:14], v12, off
	s_and_not1_b32 exec_lo, exec_lo, s9
	s_cbranch_execnz .LBB1_56
	s_branch .LBB1_52
.LBB1_57:
	s_or_b32 exec_lo, exec_lo, s3
	s_add_i32 s2, s6, s4
	s_delay_alu instid0(SALU_CYCLE_1)
	v_dual_mov_b32 v1, s6 :: v_dual_mov_b32 v2, s2
	s_waitcnt lgkmcnt(0)
	s_waitcnt_vscnt null, 0x0
	s_barrier
	buffer_gl0_inv
	ds_load_b32 v1, v1
	s_and_not1_b32 vcc_lo, exec_lo, s15
	s_waitcnt lgkmcnt(0)
	ds_store_b32 v2, v1 offset:4
	s_cbranch_vccnz .LBB1_71
; %bb.58:
	s_add_u32 s6, s24, -4
	s_addc_u32 s7, s25, -1
	s_add_u32 s8, s18, -4
	s_addc_u32 s9, s19, -1
	;; [unrolled: 2-line block ×3, first 2 shown]
	s_lshl_b32 s2, s44, 3
	v_and_b32_e32 v1, 8, v11
	v_add3_u32 v2, v9, s2, v10
	v_mul_lo_u32 v3, s40, v7
	v_cmp_gt_i32_e32 vcc_lo, s13, v7
	v_lshl_or_b32 v4, v0, 2, 28
	s_lshl_b32 s17, s44, 5
	v_add3_u32 v5, v2, 0, 8
	v_mov_b32_e32 v2, 0
	v_cmp_eq_u32_e64 s2, 0, v1
	s_mov_b32 s15, 0
	s_lshl_b32 s16, s40, 3
	s_add_i32 s17, s17, 32
	s_branch .LBB1_60
.LBB1_59:                               ;   in Loop: Header=BB1_60 Depth=1
	s_or_b32 exec_lo, exec_lo, s18
	v_add_nc_u32_e32 v3, s14, v3
	s_add_i32 s15, s15, s13
	s_waitcnt lgkmcnt(0)
	s_waitcnt_vscnt null, 0x0
	s_cmp_ge_i32 s15, s12
	s_barrier
	buffer_gl0_inv
	s_cbranch_scc1 .LBB1_71
.LBB1_60:                               ; =>This Loop Header: Depth=1
                                        ;     Child Loop BB1_65 Depth 2
                                        ;       Child Loop BB1_69 Depth 3
	s_and_saveexec_b32 s18, s0
	s_cbranch_execz .LBB1_59
; %bb.61:                               ;   in Loop: Header=BB1_60 Depth=1
	v_dual_mov_b32 v6, v5 :: v_dual_mov_b32 v1, v8
	s_mov_b32 s19, 0
	s_branch .LBB1_65
.LBB1_62:                               ;   in Loop: Header=BB1_65 Depth=2
	s_or_b32 exec_lo, exec_lo, s28
.LBB1_63:                               ;   in Loop: Header=BB1_65 Depth=2
	s_delay_alu instid0(SALU_CYCLE_1)
	s_or_b32 exec_lo, exec_lo, s23
	s_waitcnt lgkmcnt(0)
	ds_store_b32 v9, v10
.LBB1_64:                               ;   in Loop: Header=BB1_65 Depth=2
	s_or_b32 exec_lo, exec_lo, s22
	v_add_nc_u32_e32 v1, 32, v1
	v_add_nc_u32_e32 v6, 0x80, v6
	s_delay_alu instid0(VALU_DEP_2) | instskip(NEXT) | instid1(VALU_DEP_1)
	v_cmp_le_i32_e64 s3, s44, v1
	s_or_b32 s19, s3, s19
	s_delay_alu instid0(SALU_CYCLE_1)
	s_and_not1_b32 exec_lo, exec_lo, s19
	s_cbranch_execz .LBB1_59
.LBB1_65:                               ;   Parent Loop BB1_60 Depth=1
                                        ; =>  This Loop Header: Depth=2
                                        ;       Child Loop BB1_69 Depth 3
	s_delay_alu instid0(VALU_DEP_1) | instskip(SKIP_1) | instid1(VALU_DEP_1)
	v_lshlrev_b64 v[9:10], 2, v[1:2]
	s_mov_b32 s22, exec_lo
	v_add_co_u32 v9, s3, s20, v9
	s_delay_alu instid0(VALU_DEP_1)
	v_add_co_ci_u32_e64 v10, s3, s21, v10, s3
	global_load_b32 v9, v[9:10], off
	s_waitcnt vmcnt(0)
	v_cmpx_ne_u32_e32 0, v9
	s_cbranch_execz .LBB1_64
; %bb.66:                               ;   in Loop: Header=BB1_65 Depth=2
	v_lshl_add_u32 v9, v1, 2, 0
	ds_load_b32 v10, v9
	s_and_saveexec_b32 s23, vcc_lo
	s_cbranch_execz .LBB1_63
; %bb.67:                               ;   in Loop: Header=BB1_65 Depth=2
	v_dual_mov_b32 v11, v6 :: v_dual_mov_b32 v12, v3
	v_mov_b32_e32 v13, v7
	s_mov_b32 s28, 0
	s_branch .LBB1_69
.LBB1_68:                               ;   in Loop: Header=BB1_69 Depth=3
	s_or_b32 exec_lo, exec_lo, s4
	ds_bpermute_b32 v14, v4, v14
	v_add_nc_u32_e32 v13, 8, v13
	v_add_nc_u32_e32 v12, s16, v12
	;; [unrolled: 1-line block ×3, first 2 shown]
	s_delay_alu instid0(VALU_DEP_3) | instskip(NEXT) | instid1(VALU_DEP_1)
	v_cmp_le_i32_e64 s3, s13, v13
	s_or_b32 s28, s3, s28
	s_waitcnt lgkmcnt(0)
	v_add_nc_u32_e32 v10, v14, v10
	s_and_not1_b32 exec_lo, exec_lo, s28
	s_cbranch_execz .LBB1_62
.LBB1_69:                               ;   Parent Loop BB1_60 Depth=1
                                        ;     Parent Loop BB1_65 Depth=2
                                        ; =>    This Inner Loop Header: Depth=3
	ds_load_b32 v15, v11
	s_waitcnt lgkmcnt(0)
	v_cmp_ne_u32_e64 s3, 0, v15
	s_delay_alu instid0(VALU_DEP_1) | instskip(NEXT) | instid1(VALU_DEP_1)
	v_cndmask_b32_e64 v14, 0, 1, s3
	v_mov_b32_dpp v14, v14 row_shr:1 row_mask:0xf bank_mask:0xf bound_ctrl:1
	s_delay_alu instid0(VALU_DEP_1) | instskip(NEXT) | instid1(VALU_DEP_1)
	v_add_co_ci_u32_e64 v16, s4, 0, v14, s3
	v_mov_b32_dpp v16, v16 row_shr:2 row_mask:0xf bank_mask:0xf bound_ctrl:1
	s_delay_alu instid0(VALU_DEP_1) | instskip(NEXT) | instid1(VALU_DEP_1)
	v_add_co_ci_u32_e64 v14, s4, v16, v14, s3
	v_add_nc_u32_dpp v14, v14, v14 row_shr:4 row_mask:0xf bank_mask:0xf bound_ctrl:1
	s_delay_alu instid0(VALU_DEP_1) | instskip(NEXT) | instid1(VALU_DEP_1)
	v_add_nc_u32_dpp v14, v14, v14 row_shr:8 row_mask:0xf bank_mask:0xf bound_ctrl:1
	v_mov_b32_dpp v16, v14 row_share:7 row_mask:0xf bank_mask:0xf bound_ctrl:1
	s_delay_alu instid0(VALU_DEP_1) | instskip(NEXT) | instid1(VALU_DEP_1)
	v_cndmask_b32_e64 v16, v16, 0, s2
	v_sub_nc_u32_e32 v14, v14, v16
	s_and_saveexec_b32 s4, s3
	s_cbranch_execz .LBB1_68
; %bb.70:                               ;   in Loop: Header=BB1_69 Depth=3
	v_add_nc_u32_e32 v16, v12, v15
	v_add_nc_u32_e32 v18, s15, v13
	s_delay_alu instid0(VALU_DEP_2) | instskip(NEXT) | instid1(VALU_DEP_2)
	v_ashrrev_i32_e32 v17, 31, v16
	v_perm_b32 v18, v15, v18, 0x4020100
	s_delay_alu instid0(VALU_DEP_2) | instskip(NEXT) | instid1(VALU_DEP_2)
	v_lshlrev_b64 v[16:17], 2, v[16:17]
	v_add_nc_u32_e32 v20, 0xff000000, v18
	s_delay_alu instid0(VALU_DEP_2) | instskip(NEXT) | instid1(VALU_DEP_1)
	v_add_co_u32 v16, s3, s8, v16
	v_add_co_ci_u32_e64 v17, s3, s9, v17, s3
	global_load_b32 v19, v[16:17], off
	v_add_nc_u32_e32 v16, v14, v10
	s_delay_alu instid0(VALU_DEP_1) | instskip(NEXT) | instid1(VALU_DEP_1)
	v_ashrrev_i32_e32 v17, 31, v16
	v_lshlrev_b64 v[15:16], 2, v[16:17]
	s_delay_alu instid0(VALU_DEP_1) | instskip(NEXT) | instid1(VALU_DEP_1)
	v_add_co_u32 v17, s3, s6, v15
	v_add_co_ci_u32_e64 v18, s3, s7, v16, s3
	v_add_co_u32 v15, s3, s10, v15
	s_delay_alu instid0(VALU_DEP_1)
	v_add_co_ci_u32_e64 v16, s3, s11, v16, s3
	global_store_b32 v[17:18], v20, off
	s_waitcnt vmcnt(0)
	global_store_b32 v[15:16], v19, off
	s_branch .LBB1_68
.LBB1_71:
	s_and_saveexec_b32 s0, s1
	s_cbranch_execz .LBB1_77
; %bb.72:
	v_mov_b32_e32 v6, 0
	s_and_b32 s0, s12, 0xffffff
	s_lshl_b32 s1, s40, 24
	s_add_i32 s5, s5, 4
	s_or_b32 s1, s0, s1
	s_mov_b32 s2, 0
	s_set_inst_prefetch_distance 0x1
	s_branch .LBB1_74
	.p2align	6
.LBB1_73:                               ;   in Loop: Header=BB1_74 Depth=1
	s_or_b32 exec_lo, exec_lo, s3
	v_add_nc_u32_e32 v0, 0x100, v0
	s_delay_alu instid0(VALU_DEP_1) | instskip(SKIP_1) | instid1(SALU_CYCLE_1)
	v_cmp_le_i32_e32 vcc_lo, s44, v0
	s_or_b32 s2, vcc_lo, s2
	s_and_not1_b32 exec_lo, exec_lo, s2
	s_cbranch_execz .LBB1_77
.LBB1_74:                               ; =>This Loop Header: Depth=1
                                        ;     Child Loop BB1_76 Depth 2
	v_lshlrev_b32_e32 v1, 2, v0
	s_mov_b32 s3, exec_lo
	s_delay_alu instid0(VALU_DEP_1)
	v_add_nc_u32_e32 v2, 0, v1
	v_add_nc_u32_e32 v3, s5, v1
	ds_load_b32 v1, v2
	ds_load_b32 v7, v3
	s_waitcnt lgkmcnt(0)
	v_cmpx_lt_i32_e64 v1, v7
	s_cbranch_execz .LBB1_73
; %bb.75:                               ;   in Loop: Header=BB1_74 Depth=1
	v_ashrrev_i32_e32 v2, 31, v1
	s_mov_b32 s4, 0
	s_delay_alu instid0(VALU_DEP_1) | instskip(NEXT) | instid1(VALU_DEP_1)
	v_lshlrev_b64 v[4:5], 2, v[1:2]
	v_add_co_u32 v2, vcc_lo, s24, v4
	s_delay_alu instid0(VALU_DEP_2)
	v_add_co_ci_u32_e32 v3, vcc_lo, s25, v5, vcc_lo
	v_add_co_u32 v4, vcc_lo, s26, v4
	v_add_co_ci_u32_e32 v5, vcc_lo, s27, v5, vcc_lo
	.p2align	6
.LBB1_76:                               ;   Parent Loop BB1_74 Depth=1
                                        ; =>  This Inner Loop Header: Depth=2
	v_dual_mov_b32 v8, s1 :: v_dual_add_nc_u32 v1, 1, v1
	global_store_b32 v[4:5], v6, off
	v_add_co_u32 v4, vcc_lo, v4, 4
	v_add_co_ci_u32_e32 v5, vcc_lo, 0, v5, vcc_lo
	global_store_b32 v[2:3], v8, off
	v_cmp_ge_i32_e32 vcc_lo, v1, v7
	v_add_co_u32 v2, s0, v2, 4
	s_delay_alu instid0(VALU_DEP_1) | instskip(SKIP_1) | instid1(SALU_CYCLE_1)
	v_add_co_ci_u32_e64 v3, s0, 0, v3, s0
	s_or_b32 s4, vcc_lo, s4
	s_and_not1_b32 exec_lo, exec_lo, s4
	s_cbranch_execnz .LBB1_76
	s_branch .LBB1_73
.LBB1_77:
	s_set_inst_prefetch_distance 0x2
	s_nop 0
	s_sendmsg sendmsg(MSG_DEALLOC_VGPRS)
	s_endpgm
	.section	.rodata,"a",@progbits
	.p2align	6, 0x0
	.amdhsa_kernel _ZN5aiter22opus_moe_sorting_entryINS_16MoeSortingKernelINS_19MoeSortingProblemExIifLi8ELb1ELb1ELb1ELb1ELi0EEEEENS4_5KargsEEEvT0_
		.amdhsa_group_segment_fixed_size 0
		.amdhsa_private_segment_fixed_size 0
		.amdhsa_kernarg_size 400
		.amdhsa_user_sgpr_count 15
		.amdhsa_user_sgpr_dispatch_ptr 0
		.amdhsa_user_sgpr_queue_ptr 0
		.amdhsa_user_sgpr_kernarg_segment_ptr 1
		.amdhsa_user_sgpr_dispatch_id 0
		.amdhsa_user_sgpr_private_segment_size 0
		.amdhsa_wavefront_size32 1
		.amdhsa_uses_dynamic_stack 0
		.amdhsa_enable_private_segment 0
		.amdhsa_system_sgpr_workgroup_id_x 1
		.amdhsa_system_sgpr_workgroup_id_y 0
		.amdhsa_system_sgpr_workgroup_id_z 0
		.amdhsa_system_sgpr_workgroup_info 0
		.amdhsa_system_vgpr_workitem_id 0
		.amdhsa_next_free_vgpr 29
		.amdhsa_next_free_sgpr 48
		.amdhsa_reserve_vcc 1
		.amdhsa_float_round_mode_32 0
		.amdhsa_float_round_mode_16_64 0
		.amdhsa_float_denorm_mode_32 3
		.amdhsa_float_denorm_mode_16_64 3
		.amdhsa_dx10_clamp 1
		.amdhsa_ieee_mode 1
		.amdhsa_fp16_overflow 0
		.amdhsa_workgroup_processor_mode 1
		.amdhsa_memory_ordered 1
		.amdhsa_forward_progress 0
		.amdhsa_shared_vgpr_count 0
		.amdhsa_exception_fp_ieee_invalid_op 0
		.amdhsa_exception_fp_denorm_src 0
		.amdhsa_exception_fp_ieee_div_zero 0
		.amdhsa_exception_fp_ieee_overflow 0
		.amdhsa_exception_fp_ieee_underflow 0
		.amdhsa_exception_fp_ieee_inexact 0
		.amdhsa_exception_int_div_zero 0
	.end_amdhsa_kernel
	.section	.text._ZN5aiter22opus_moe_sorting_entryINS_16MoeSortingKernelINS_19MoeSortingProblemExIifLi8ELb1ELb1ELb1ELb1ELi0EEEEENS4_5KargsEEEvT0_,"axG",@progbits,_ZN5aiter22opus_moe_sorting_entryINS_16MoeSortingKernelINS_19MoeSortingProblemExIifLi8ELb1ELb1ELb1ELb1ELi0EEEEENS4_5KargsEEEvT0_,comdat
.Lfunc_end1:
	.size	_ZN5aiter22opus_moe_sorting_entryINS_16MoeSortingKernelINS_19MoeSortingProblemExIifLi8ELb1ELb1ELb1ELb1ELi0EEEEENS4_5KargsEEEvT0_, .Lfunc_end1-_ZN5aiter22opus_moe_sorting_entryINS_16MoeSortingKernelINS_19MoeSortingProblemExIifLi8ELb1ELb1ELb1ELb1ELi0EEEEENS4_5KargsEEEvT0_
                                        ; -- End function
	.section	.AMDGPU.csdata,"",@progbits
; Kernel info:
; codeLenInByte = 4116
; NumSgprs: 50
; NumVgprs: 29
; ScratchSize: 0
; MemoryBound: 0
; FloatMode: 240
; IeeeMode: 1
; LDSByteSize: 0 bytes/workgroup (compile time only)
; SGPRBlocks: 6
; VGPRBlocks: 3
; NumSGPRsForWavesPerEU: 50
; NumVGPRsForWavesPerEU: 29
; Occupancy: 16
; WaveLimiterHint : 1
; COMPUTE_PGM_RSRC2:SCRATCH_EN: 0
; COMPUTE_PGM_RSRC2:USER_SGPR: 15
; COMPUTE_PGM_RSRC2:TRAP_HANDLER: 0
; COMPUTE_PGM_RSRC2:TGID_X_EN: 1
; COMPUTE_PGM_RSRC2:TGID_Y_EN: 0
; COMPUTE_PGM_RSRC2:TGID_Z_EN: 0
; COMPUTE_PGM_RSRC2:TIDIG_COMP_CNT: 0
	.section	.text._ZN5aiter22opus_moe_sorting_entryINS_16MoeSortingKernelINS_19MoeSortingProblemExIifLi4ELb1ELb1ELb1ELb1ELi0EEEEENS4_5KargsEEEvT0_,"axG",@progbits,_ZN5aiter22opus_moe_sorting_entryINS_16MoeSortingKernelINS_19MoeSortingProblemExIifLi4ELb1ELb1ELb1ELb1ELi0EEEEENS4_5KargsEEEvT0_,comdat
	.protected	_ZN5aiter22opus_moe_sorting_entryINS_16MoeSortingKernelINS_19MoeSortingProblemExIifLi4ELb1ELb1ELb1ELb1ELi0EEEEENS4_5KargsEEEvT0_ ; -- Begin function _ZN5aiter22opus_moe_sorting_entryINS_16MoeSortingKernelINS_19MoeSortingProblemExIifLi4ELb1ELb1ELb1ELb1ELi0EEEEENS4_5KargsEEEvT0_
	.globl	_ZN5aiter22opus_moe_sorting_entryINS_16MoeSortingKernelINS_19MoeSortingProblemExIifLi4ELb1ELb1ELb1ELb1ELi0EEEEENS4_5KargsEEEvT0_
	.p2align	8
	.type	_ZN5aiter22opus_moe_sorting_entryINS_16MoeSortingKernelINS_19MoeSortingProblemExIifLi4ELb1ELb1ELb1ELb1ELi0EEEEENS4_5KargsEEEvT0_,@function
_ZN5aiter22opus_moe_sorting_entryINS_16MoeSortingKernelINS_19MoeSortingProblemExIifLi4ELb1ELb1ELb1ELb1ELi0EEEEENS4_5KargsEEEvT0_: ; @_ZN5aiter22opus_moe_sorting_entryINS_16MoeSortingKernelINS_19MoeSortingProblemExIifLi4ELb1ELb1ELb1ELb1ELi0EEEEENS4_5KargsEEEvT0_
; %bb.0:
	s_clause 0x2
	s_load_b512 s[16:31], s[0:1], 0x0
	s_load_b128 s[4:7], s[0:1], 0x40
	s_load_b128 s[36:39], s[0:1], 0x54
	s_cmp_eq_u32 s15, 0
	s_waitcnt lgkmcnt(0)
	s_load_b32 s22, s[22:23], 0x0
	s_cbranch_scc1 .LBB2_7
; %bb.1:
	s_cmp_eq_u64 s[4:5], 0
	s_cbranch_scc1 .LBB2_6
; %bb.2:
	s_waitcnt lgkmcnt(0)
	s_ashr_i32 s2, s22, 31
	s_mul_i32 s3, s38, s37
	s_mul_hi_i32 s9, s38, s37
	s_mul_i32 s2, s3, s2
	s_mul_hi_u32 s8, s3, s22
	s_mul_i32 s9, s9, s22
	s_add_i32 s2, s8, s2
	s_mul_i32 s3, s3, s22
	s_add_i32 s8, s2, s9
	v_mov_b32_e32 v2, 0
	s_ashr_i32 s2, s8, 31
	s_mov_b32 s11, 0
	s_lshr_b32 s2, s2, 28
	s_delay_alu instid0(SALU_CYCLE_1) | instskip(SKIP_2) | instid1(SALU_CYCLE_1)
	s_add_u32 s2, s3, s2
	s_addc_u32 s3, s8, 0
	s_lshl_b32 s8, s15, 8
	v_add3_u32 v1, v0, s8, 0xffffff00
	s_ashr_i64 s[8:9], s[2:3], 4
	s_mov_b32 s3, exec_lo
	s_delay_alu instid0(VALU_DEP_1)
	v_cmpx_gt_i64_e64 s[8:9], v[1:2]
	s_cbranch_execz .LBB2_5
; %bb.3:
	s_load_b32 s2, s[0:1], 0x90
	v_lshlrev_b64 v[3:4], 4, v[1:2]
	v_dual_mov_b32 v6, v2 :: v_dual_mov_b32 v5, v1
	v_mov_b32_e32 v1, v2
	s_delay_alu instid0(VALU_DEP_3) | instskip(NEXT) | instid1(VALU_DEP_4)
	v_add_co_u32 v7, vcc_lo, s4, v3
	v_add_co_ci_u32_e32 v8, vcc_lo, s5, v4, vcc_lo
	v_mov_b32_e32 v3, v2
	v_mov_b32_e32 v4, v2
	s_waitcnt lgkmcnt(0)
	s_lshl_b32 s2, s2, 8
	s_delay_alu instid0(SALU_CYCLE_1) | instskip(NEXT) | instid1(SALU_CYCLE_1)
	s_add_i32 s10, s2, 0xffffff00
	s_lshl_b64 s[4:5], s[10:11], 4
.LBB2_4:                                ; =>This Inner Loop Header: Depth=1
	v_add_co_u32 v5, vcc_lo, v5, s10
	v_add_co_ci_u32_e32 v6, vcc_lo, 0, v6, vcc_lo
	global_store_b128 v[7:8], v[1:4], off
	v_add_co_u32 v7, s2, v7, s4
	v_cmp_le_i64_e32 vcc_lo, s[8:9], v[5:6]
	v_add_co_ci_u32_e64 v8, s2, s5, v8, s2
	s_or_b32 s11, vcc_lo, s11
	s_delay_alu instid0(SALU_CYCLE_1)
	s_and_not1_b32 exec_lo, exec_lo, s11
	s_cbranch_execnz .LBB2_4
.LBB2_5:
	s_or_b32 exec_lo, exec_lo, s3
.LBB2_6:
	s_cbranch_execz .LBB2_8
	s_branch .LBB2_77
.LBB2_7:
.LBB2_8:
	s_clause 0x1
	s_load_b256 s[8:15], s[0:1], 0x64
	s_load_b64 s[0:1], s[0:1], 0x84
	v_lshrrev_b32_e32 v1, 5, v0
	s_add_i32 s35, s36, 1
	s_mov_b32 s37, exec_lo
	s_delay_alu instid0(VALU_DEP_1) | instskip(SKIP_2) | instid1(SALU_CYCLE_1)
	v_readfirstlane_b32 s34, v1
	s_waitcnt lgkmcnt(0)
	s_add_i32 s23, s8, -2
	s_mul_i32 s33, s23, s36
	s_delay_alu instid0(SALU_CYCLE_1)
	v_cmpx_gt_i32_e64 s33, v0
	s_cbranch_execz .LBB2_11
; %bb.9:
	v_dual_mov_b32 v4, 0 :: v_dual_lshlrev_b32 v3, 2, v0
	s_lshl_b32 s2, s36, 3
	v_mad_u64_u32 v[1:2], null, v0, s0, 0
	s_add_i32 s2, s2, 0
	v_mov_b32_e32 v5, v0
	v_add3_u32 v3, s2, v3, 8
	s_mov_b32 s3, 0
	s_sub_i32 s4, s35, s15
	s_mov_b32 s2, s0
	s_lshl_b32 s15, s4, 2
	s_lshl_b64 s[4:5], s[2:3], 8
	.p2align	6
.LBB2_10:                               ; =>This Inner Loop Header: Depth=1
	v_add_nc_u32_e32 v6, v5, v2
	v_add_nc_u32_e32 v5, 0x100, v5
	v_add_co_u32 v1, vcc_lo, v1, s4
	v_add_co_ci_u32_e32 v2, vcc_lo, s5, v2, vcc_lo
	s_delay_alu instid0(VALU_DEP_4) | instskip(NEXT) | instid1(VALU_DEP_4)
	v_lshrrev_b32_e32 v8, s1, v6
	v_cmp_le_i32_e64 s0, s33, v5
	s_delay_alu instid0(VALU_DEP_2) | instskip(SKIP_1) | instid1(VALU_DEP_3)
	v_mad_u64_u32 v[6:7], null, s15, v8, v[3:4]
	v_add_nc_u32_e32 v3, 0x400, v3
	s_or_b32 s3, s0, s3
	ds_store_b32 v6, v4
	s_and_not1_b32 exec_lo, exec_lo, s3
	s_cbranch_execnz .LBB2_10
.LBB2_11:
	s_or_b32 exec_lo, exec_lo, s37
	s_cmp_gt_i32 s22, 0
	s_mov_b32 s3, 0
	s_cselect_b32 s33, -1, 0
	s_cmp_lt_i32 s22, 1
	s_mul_i32 s15, s12, s23
	s_waitcnt lgkmcnt(0)
	s_waitcnt_vscnt null, 0x0
	s_barrier
	buffer_gl0_inv
	s_cbranch_scc1 .LBB2_19
; %bb.12:
	v_mad_u64_u32 v[1:2], null, v0, s13, 0
	v_cmp_gt_i32_e32 vcc_lo, s15, v0
	v_mov_b32_e32 v4, 0
	s_lshl_b32 s0, s35, 3
	s_mov_b32 s2, s13
	s_add_i32 s37, s0, 0
	s_sub_i32 s13, 0, s12
	s_lshl_b64 s[4:5], s[2:3], 8
	s_mov_b32 s2, 0
	s_branch .LBB2_14
.LBB2_13:                               ;   in Loop: Header=BB2_14 Depth=1
	s_set_inst_prefetch_distance 0x2
	s_or_b32 exec_lo, exec_lo, s38
	s_add_i32 s2, s2, s23
	s_add_i32 s3, s3, s15
	s_cmp_ge_i32 s2, s22
	s_waitcnt lgkmcnt(0)
	s_barrier
	buffer_gl0_inv
	s_cbranch_scc1 .LBB2_19
.LBB2_14:                               ; =>This Loop Header: Depth=1
                                        ;     Child Loop BB2_17 Depth 2
	s_and_saveexec_b32 s38, vcc_lo
	s_cbranch_execz .LBB2_13
; %bb.15:                               ;   in Loop: Header=BB2_14 Depth=1
	v_dual_mov_b32 v6, v2 :: v_dual_mov_b32 v5, v1
	v_mov_b32_e32 v7, v0
	s_mov_b32 s39, 0
	s_set_inst_prefetch_distance 0x1
	s_branch .LBB2_17
	.p2align	6
.LBB2_16:                               ;   in Loop: Header=BB2_17 Depth=2
	s_or_b32 exec_lo, exec_lo, s1
	v_add_nc_u32_e32 v7, 0x100, v7
	v_add_co_u32 v5, s1, v5, s4
	s_delay_alu instid0(VALU_DEP_1) | instskip(NEXT) | instid1(VALU_DEP_3)
	v_add_co_ci_u32_e64 v6, s1, s5, v6, s1
	v_cmp_le_i32_e64 s0, s15, v7
	s_waitcnt vmcnt(48) lgkmcnt(7)
	s_delay_alu instid0(VALU_DEP_1) | instskip(NEXT) | instid1(SALU_CYCLE_1)
	s_or_b32 s39, s0, s39
	s_and_not1_b32 exec_lo, exec_lo, s39
	s_cbranch_execz .LBB2_13
.LBB2_17:                               ;   Parent Loop BB2_14 Depth=1
                                        ; =>  This Inner Loop Header: Depth=2
	s_delay_alu instid0(VALU_DEP_1) | instskip(SKIP_1) | instid1(VALU_DEP_1)
	v_add_nc_u32_e32 v3, v7, v6
	s_mov_b32 s1, exec_lo
	v_lshrrev_b32_e32 v8, s14, v3
	s_delay_alu instid0(VALU_DEP_1) | instskip(NEXT) | instid1(VALU_DEP_1)
	v_add_nc_u32_e32 v3, s2, v8
	v_cmpx_gt_i32_e64 s22, v3
	s_cbranch_execz .LBB2_16
; %bb.18:                               ;   in Loop: Header=BB2_17 Depth=2
	v_add_nc_u32_e32 v3, s3, v7
	s_delay_alu instid0(VALU_DEP_1) | instskip(NEXT) | instid1(VALU_DEP_1)
	v_lshlrev_b64 v[9:10], 2, v[3:4]
	v_add_co_u32 v9, s0, s16, v9
	s_delay_alu instid0(VALU_DEP_1) | instskip(SKIP_3) | instid1(VALU_DEP_2)
	v_add_co_ci_u32_e64 v10, s0, s17, v10, s0
	global_load_b32 v3, v[9:10], off
	v_mul_lo_u32 v9, v8, s35
	v_mul_lo_u32 v8, s13, v8
	v_lshlrev_b32_e32 v9, 2, v9
	s_delay_alu instid0(VALU_DEP_2) | instskip(SKIP_2) | instid1(VALU_DEP_1)
	v_add3_u32 v8, v7, v8, 1
	s_waitcnt vmcnt(0)
	v_lshlrev_b32_e32 v3, 2, v3
	v_add3_u32 v3, s37, v3, v9
	ds_store_b32 v3, v8
	s_branch .LBB2_16
.LBB2_19:
	s_mov_b32 s0, exec_lo
	v_cmpx_eq_u32_e32 0, v0
	s_cbranch_execz .LBB2_21
; %bb.20:
	v_mov_b32_e32 v1, 0
	ds_store_b32 v1, v1
.LBB2_21:
	s_or_b32 exec_lo, exec_lo, s0
	v_and_b32_e32 v7, 7, v0
	v_lshrrev_b32_e32 v8, 3, v0
	v_mbcnt_lo_u32_b32 v11, -1, 0
	s_mov_b32 s14, 0
	s_delay_alu instid0(VALU_DEP_3) | instskip(NEXT) | instid1(VALU_DEP_3)
	v_mul_lo_u32 v1, s35, v7
	v_cmp_gt_i32_e64 s0, s36, v8
	v_lshlrev_b32_e32 v9, 2, v8
	s_delay_alu instid0(VALU_DEP_3) | instskip(NEXT) | instid1(VALU_DEP_3)
	v_lshlrev_b32_e32 v10, 2, v1
	s_and_saveexec_b32 s13, s0
	s_cbranch_execz .LBB2_29
; %bb.22:
	s_cmp_gt_i32 s8, 2
	s_mul_i32 s2, s36, 0x68
	s_mul_i32 s3, s36, 0x48
	s_cselect_b32 s8, -1, 0
	s_add_i32 s2, s2, 0
	s_add_i32 s3, s3, 0
	v_lshlrev_b32_e32 v3, 2, v11
	v_add3_u32 v4, s2, v10, 0x68
	v_add3_u32 v5, s3, v10, 0x48
	s_mul_i32 s2, s36, 40
	s_lshl_b32 s3, s36, 3
	s_add_i32 s2, s2, 0
	s_add_i32 s3, s3, 0
	v_cmp_eq_u32_e64 s1, 0, v7
	v_xor_b32_e32 v1, 4, v3
	v_xor_b32_e32 v2, 8, v3
	;; [unrolled: 1-line block ×3, first 2 shown]
	v_add3_u32 v6, s2, v10, 40
	v_add3_u32 v12, s3, v10, 8
	v_mov_b32_e32 v13, v8
	s_lshl_b32 s35, s36, 7
	s_delay_alu instid0(SALU_CYCLE_1)
	s_addk_i32 s35, 0x80
	s_branch .LBB2_24
.LBB2_23:                               ;   in Loop: Header=BB2_24 Depth=1
	s_or_b32 exec_lo, exec_lo, s2
	v_add_nc_u32_e32 v13, 32, v13
	v_add_nc_u32_e32 v4, 0x80, v4
	;; [unrolled: 1-line block ×5, first 2 shown]
	v_cmp_le_i32_e32 vcc_lo, s36, v13
	s_or_b32 s14, vcc_lo, s14
	s_delay_alu instid0(SALU_CYCLE_1)
	s_and_not1_b32 exec_lo, exec_lo, s14
	s_cbranch_execz .LBB2_29
.LBB2_24:                               ; =>This Loop Header: Depth=1
                                        ;     Child Loop BB2_26 Depth 2
	v_mov_b32_e32 v14, 0
	s_and_not1_b32 vcc_lo, exec_lo, s8
	s_cbranch_vccnz .LBB2_27
; %bb.25:                               ;   in Loop: Header=BB2_24 Depth=1
	v_dual_mov_b32 v14, 0 :: v_dual_mov_b32 v15, v12
	v_dual_mov_b32 v16, v6 :: v_dual_mov_b32 v17, v5
	v_mov_b32_e32 v18, v4
	s_mov_b32 s37, 0
.LBB2_26:                               ;   Parent Loop BB2_24 Depth=1
                                        ; =>  This Inner Loop Header: Depth=2
	s_delay_alu instid0(VALU_DEP_3) | instskip(NEXT) | instid1(VALU_DEP_3)
	v_add_nc_u32_e32 v19, v15, v9
	v_add_nc_u32_e32 v20, v16, v9
	;; [unrolled: 1-line block ×5, first 2 shown]
	ds_load_b32 v19, v19
	ds_load_b32 v20, v20
	;; [unrolled: 1-line block ×4, first 2 shown]
	v_add_nc_u32_e32 v17, s35, v17
	v_add_nc_u32_e32 v16, s35, v16
	;; [unrolled: 1-line block ×3, first 2 shown]
	s_add_i32 s37, s37, 32
	s_delay_alu instid0(SALU_CYCLE_1)
	s_cmp_lt_i32 s37, s23
	s_waitcnt lgkmcnt(3)
	v_cmp_ne_u32_e32 vcc_lo, 0, v19
	s_waitcnt lgkmcnt(2)
	v_cmp_ne_u32_e64 s2, 0, v20
	s_waitcnt lgkmcnt(1)
	v_cmp_ne_u32_e64 s3, 0, v21
	;; [unrolled: 2-line block ×3, first 2 shown]
	v_cndmask_b32_e64 v19, 0, 1, vcc_lo
	v_cndmask_b32_e64 v20, 0, 1, s2
	v_cndmask_b32_e64 v21, 0, 1, s3
	s_delay_alu instid0(VALU_DEP_4)
	v_cndmask_b32_e64 v22, 0, 1, s4
	ds_bpermute_b32 v19, v1, v19
	ds_bpermute_b32 v20, v1, v20
	;; [unrolled: 1-line block ×4, first 2 shown]
	s_waitcnt lgkmcnt(3)
	v_add_co_ci_u32_e64 v23, s5, 0, v19, vcc_lo
	s_waitcnt lgkmcnt(2)
	v_add_co_ci_u32_e64 v24, s5, 0, v20, s2
	s_waitcnt lgkmcnt(1)
	v_add_co_ci_u32_e64 v25, s5, 0, v21, s3
	ds_bpermute_b32 v23, v2, v23
	ds_bpermute_b32 v24, v2, v24
	s_waitcnt lgkmcnt(2)
	v_add_co_ci_u32_e64 v26, s5, 0, v22, s4
	ds_bpermute_b32 v25, v2, v25
	ds_bpermute_b32 v26, v2, v26
	s_waitcnt lgkmcnt(3)
	v_add_co_ci_u32_e32 v19, vcc_lo, v23, v19, vcc_lo
	s_waitcnt lgkmcnt(2)
	v_add_co_ci_u32_e64 v20, vcc_lo, v24, v20, s2
	s_waitcnt lgkmcnt(1)
	v_add_co_ci_u32_e64 v21, vcc_lo, v25, v21, s3
	ds_bpermute_b32 v23, v3, v19
	ds_bpermute_b32 v24, v3, v20
	s_waitcnt lgkmcnt(2)
	v_add_co_ci_u32_e64 v22, vcc_lo, v26, v22, s4
	ds_bpermute_b32 v25, v3, v21
	ds_bpermute_b32 v26, v3, v22
	s_waitcnt lgkmcnt(3)
	v_add3_u32 v14, v19, v14, v23
	s_waitcnt lgkmcnt(2)
	s_delay_alu instid0(VALU_DEP_1) | instskip(SKIP_1) | instid1(VALU_DEP_1)
	v_add3_u32 v14, v14, v20, v24
	s_waitcnt lgkmcnt(1)
	v_add3_u32 v14, v14, v21, v25
	s_waitcnt lgkmcnt(0)
	s_delay_alu instid0(VALU_DEP_1)
	v_add3_u32 v14, v14, v22, v26
	s_cbranch_scc1 .LBB2_26
.LBB2_27:                               ;   in Loop: Header=BB2_24 Depth=1
	s_and_saveexec_b32 s2, s1
	s_cbranch_execz .LBB2_23
; %bb.28:                               ;   in Loop: Header=BB2_24 Depth=1
	v_lshl_add_u32 v15, v13, 2, 0
	ds_store_b32 v15, v14 offset:4
	s_branch .LBB2_23
.LBB2_29:
	s_or_b32 exec_lo, exec_lo, s13
	s_lshl_b32 s4, s36, 2
	v_cmp_gt_i32_e64 s1, s36, v0
	s_add_i32 s8, s4, 0
	s_delay_alu instid0(SALU_CYCLE_1)
	v_dual_mov_b32 v1, 0 :: v_dual_mov_b32 v2, s8
	s_mov_b32 s3, 0
	ds_store_b32 v2, v1 offset:4
	s_and_saveexec_b32 s5, s1
	s_cbranch_execz .LBB2_32
; %bb.30:
	v_dual_mov_b32 v4, v0 :: v_dual_lshlrev_b32 v1, 2, v0
	s_delay_alu instid0(VALU_DEP_1) | instskip(SKIP_1) | instid1(VALU_DEP_1)
	v_add3_u32 v3, s8, v1, 8
	v_add_co_u32 v1, s2, s20, v1
	v_add_co_ci_u32_e64 v2, null, s21, 0, s2
	.p2align	6
.LBB2_31:                               ; =>This Inner Loop Header: Depth=1
	global_load_b32 v5, v[1:2], off
	v_add_nc_u32_e32 v4, 0x100, v4
	v_add_co_u32 v1, vcc_lo, 0x400, v1
	v_add_co_ci_u32_e32 v2, vcc_lo, 0, v2, vcc_lo
	s_delay_alu instid0(VALU_DEP_3) | instskip(NEXT) | instid1(VALU_DEP_1)
	v_cmp_le_i32_e64 s2, s36, v4
	s_or_b32 s3, s2, s3
	s_waitcnt vmcnt(0)
	ds_store_b32 v3, v5
	v_add_nc_u32_e32 v3, 0x400, v3
	s_and_not1_b32 exec_lo, exec_lo, s3
	s_cbranch_execnz .LBB2_31
.LBB2_32:
	s_or_b32 exec_lo, exec_lo, s5
	s_add_i32 s5, s8, 4
	s_cmp_lg_u32 s34, 0
	s_mov_b32 s13, 0
	s_waitcnt lgkmcnt(0)
	s_barrier
	buffer_gl0_inv
	s_cbranch_scc1 .LBB2_43
; %bb.33:
	v_mov_b32_e32 v1, 0
	s_cmp_lt_i32 s36, 1
	s_cbranch_scc1 .LBB2_40
; %bb.34:
	v_lshlrev_b32_e32 v1, 2, v11
	v_cmp_eq_u32_e32 vcc_lo, 0, v11
	v_cmp_lt_u32_e64 s2, 15, v11
	s_add_i32 s14, s9, -1
	s_delay_alu instid0(VALU_DEP_3) | instskip(SKIP_1) | instid1(VALU_DEP_2)
	v_and_b32_e32 v2, 64, v1
	v_add_nc_u32_e32 v3, 0, v1
	v_add_nc_u32_e32 v2, -4, v2
	s_branch .LBB2_36
.LBB2_35:                               ;   in Loop: Header=BB2_36 Depth=1
	s_or_b32 exec_lo, exec_lo, s34
	v_add_nc_u32_e32 v3, 0x80, v3
	s_add_i32 s13, s13, 32
	s_waitcnt vmcnt(48) lgkmcnt(7)
	s_cmp_lt_i32 s13, s36
	s_cbranch_scc0 .LBB2_40
.LBB2_36:                               ; =>This Inner Loop Header: Depth=1
	ds_load_b32 v1, v3 offset:4
	v_add_nc_u32_e32 v4, s4, v3
	s_waitcnt lgkmcnt(1)
	v_cndmask_b32_e64 v6, 0, s13, vcc_lo
	ds_load_b32 v5, v4 offset:8
	v_lshlrev_b32_e32 v6, 2, v6
	s_delay_alu instid0(VALU_DEP_1) | instskip(SKIP_4) | instid1(VALU_DEP_1)
	v_add_nc_u32_e32 v13, 0, v6
	v_add_nc_u32_e32 v6, s5, v6
	ds_load_b32 v6, v6
	s_waitcnt lgkmcnt(2)
	v_add_nc_u32_e32 v1, s14, v1
	v_mul_hi_u32 v12, v1, s10
	s_waitcnt lgkmcnt(1)
	v_cmp_ne_u32_e64 s3, 0, v5
	s_delay_alu instid0(VALU_DEP_2) | instskip(SKIP_3) | instid1(VALU_DEP_1)
	v_add_nc_u32_e32 v1, v1, v12
	ds_load_b32 v12, v13
	v_add_nc_u32_e32 v13, s13, v11
	v_lshrrev_b32_e32 v1, s11, v1
	v_mul_lo_u32 v1, v1, s9
	s_delay_alu instid0(VALU_DEP_1) | instskip(NEXT) | instid1(VALU_DEP_4)
	v_cndmask_b32_e64 v1, 0, v1, s3
	v_cmp_gt_i32_e64 s3, s36, v13
	s_waitcnt lgkmcnt(0)
	s_delay_alu instid0(VALU_DEP_2) | instskip(NEXT) | instid1(VALU_DEP_1)
	v_add_nc_u32_e32 v1, v1, v12
	v_add_nc_u32_dpp v1, v1, v1 row_shr:1 row_mask:0xf bank_mask:0xf bound_ctrl:1
	s_delay_alu instid0(VALU_DEP_1) | instskip(NEXT) | instid1(VALU_DEP_1)
	v_add_nc_u32_dpp v1, v1, v1 row_shr:2 row_mask:0xf bank_mask:0xf bound_ctrl:1
	v_add_nc_u32_dpp v1, v1, v1 row_shr:4 row_mask:0xf bank_mask:0xf bound_ctrl:1
	s_delay_alu instid0(VALU_DEP_1) | instskip(SKIP_3) | instid1(VALU_DEP_1)
	v_add_nc_u32_dpp v1, v1, v1 row_shr:8 row_mask:0xf bank_mask:0xf bound_ctrl:1
	ds_bpermute_b32 v12, v2, v1
	s_waitcnt lgkmcnt(0)
	v_cndmask_b32_e64 v12, 0, v12, s2
	v_add_nc_u32_e32 v1, v1, v12
	s_and_saveexec_b32 s34, s3
	s_cbranch_execz .LBB2_38
; %bb.37:                               ;   in Loop: Header=BB2_36 Depth=1
	ds_store_b32 v3, v1 offset:4
.LBB2_38:                               ;   in Loop: Header=BB2_36 Depth=1
	s_or_b32 exec_lo, exec_lo, s34
	v_add_nc_u32_e32 v5, v5, v6
	s_delay_alu instid0(VALU_DEP_1) | instskip(NEXT) | instid1(VALU_DEP_1)
	v_add_nc_u32_dpp v5, v5, v5 row_shr:1 row_mask:0xf bank_mask:0xf bound_ctrl:1
	v_add_nc_u32_dpp v5, v5, v5 row_shr:2 row_mask:0xf bank_mask:0xf bound_ctrl:1
	s_delay_alu instid0(VALU_DEP_1) | instskip(NEXT) | instid1(VALU_DEP_1)
	v_add_nc_u32_dpp v5, v5, v5 row_shr:4 row_mask:0xf bank_mask:0xf bound_ctrl:1
	v_add_nc_u32_dpp v5, v5, v5 row_shr:8 row_mask:0xf bank_mask:0xf bound_ctrl:1
	ds_bpermute_b32 v6, v2, v5
	s_and_saveexec_b32 s34, s3
	s_cbranch_execz .LBB2_35
; %bb.39:                               ;   in Loop: Header=BB2_36 Depth=1
	s_waitcnt lgkmcnt(0)
	v_cndmask_b32_e64 v6, 0, v6, s2
	s_delay_alu instid0(VALU_DEP_1)
	v_add_nc_u32_e32 v5, v6, v5
	ds_store_b32 v4, v5 offset:8
	s_branch .LBB2_35
.LBB2_40:
	v_add3_u32 v2, v11, s13, 0xffffffe1
	s_mov_b32 s2, exec_lo
	s_delay_alu instid0(VALU_DEP_1)
	v_cmpx_eq_u32_e64 s36, v2
	s_cbranch_execz .LBB2_42
; %bb.41:
	v_dual_mov_b32 v3, 0 :: v_dual_mov_b32 v2, s22
	global_store_b64 v3, v[1:2], s[30:31]
.LBB2_42:
	s_or_b32 exec_lo, exec_lo, s2
.LBB2_43:
	s_cmp_eq_u64 s[6:7], 0
	s_waitcnt lgkmcnt(0)
	s_waitcnt_vscnt null, 0x0
	s_barrier
	buffer_gl0_inv
	s_cbranch_scc1 .LBB2_50
; %bb.44:
	s_mul_i32 s3, s22, s12
	s_mov_b32 s13, exec_lo
	v_cmpx_gt_i32_e64 s3, v0
	s_cbranch_execz .LBB2_49
; %bb.45:
	v_dual_mov_b32 v12, v0 :: v_dual_lshlrev_b32 v3, 2, v0
	s_delay_alu instid0(VALU_DEP_1) | instskip(NEXT) | instid1(VALU_DEP_1)
	v_add_co_u32 v1, s2, s16, v3
	v_add_co_ci_u32_e64 v2, null, s17, 0, s2
	v_add_co_u32 v3, s2, s6, v3
	s_delay_alu instid0(VALU_DEP_1)
	v_add_co_ci_u32_e64 v4, null, s7, 0, s2
	s_mov_b32 s6, 0
	s_set_inst_prefetch_distance 0x1
	s_branch .LBB2_47
	.p2align	6
.LBB2_46:                               ;   in Loop: Header=BB2_47 Depth=1
	s_or_b32 exec_lo, exec_lo, s2
	v_add_nc_u32_e32 v12, 0x100, v12
	v_add_co_u32 v1, vcc_lo, 0x400, v1
	v_add_co_ci_u32_e32 v2, vcc_lo, 0, v2, vcc_lo
	s_waitcnt lgkmcnt(0)
	global_store_b32 v[3:4], v6, off
	v_cmp_le_i32_e32 vcc_lo, s3, v12
	v_add_co_u32 v3, s2, 0x400, v3
	s_delay_alu instid0(VALU_DEP_1) | instskip(SKIP_1) | instid1(SALU_CYCLE_1)
	v_add_co_ci_u32_e64 v4, s2, 0, v4, s2
	s_or_b32 s6, vcc_lo, s6
	s_and_not1_b32 exec_lo, exec_lo, s6
	s_cbranch_execz .LBB2_49
.LBB2_47:                               ; =>This Inner Loop Header: Depth=1
	global_load_b32 v5, v[1:2], off
	s_waitcnt vmcnt(0)
	v_ashrrev_i32_e32 v6, 31, v5
	s_delay_alu instid0(VALU_DEP_1) | instskip(NEXT) | instid1(VALU_DEP_1)
	v_lshlrev_b64 v[13:14], 2, v[5:6]
	v_add_co_u32 v13, vcc_lo, s20, v13
	s_delay_alu instid0(VALU_DEP_2)
	v_add_co_ci_u32_e32 v14, vcc_lo, s21, v14, vcc_lo
	global_load_b32 v6, v[13:14], off
	s_waitcnt vmcnt(0)
	v_cmp_ne_u32_e32 vcc_lo, 0, v6
	v_mov_b32_e32 v6, -1
	s_and_saveexec_b32 s2, vcc_lo
	s_cbranch_execz .LBB2_46
; %bb.48:                               ;   in Loop: Header=BB2_47 Depth=1
	v_lshl_add_u32 v5, v5, 2, s5
	ds_load_b32 v6, v5
	s_branch .LBB2_46
.LBB2_49:
	s_set_inst_prefetch_distance 0x2
	s_or_b32 exec_lo, exec_lo, s13
	s_waitcnt_vscnt null, 0x0
	s_barrier
	buffer_gl0_inv
.LBB2_50:
	s_and_saveexec_b32 s3, s1
	s_cbranch_execz .LBB2_57
; %bb.51:
	v_dual_mov_b32 v2, 0 :: v_dual_mov_b32 v3, v0
	s_mov_b32 s6, 0
	s_branch .LBB2_53
.LBB2_52:                               ;   in Loop: Header=BB2_53 Depth=1
	s_or_b32 exec_lo, exec_lo, s7
	v_add_nc_u32_e32 v3, 0x100, v3
	s_delay_alu instid0(VALU_DEP_1) | instskip(SKIP_1) | instid1(SALU_CYCLE_1)
	v_cmp_le_i32_e32 vcc_lo, s36, v3
	s_or_b32 s6, vcc_lo, s6
	s_and_not1_b32 exec_lo, exec_lo, s6
	s_cbranch_execz .LBB2_57
.LBB2_53:                               ; =>This Loop Header: Depth=1
                                        ;     Child Loop BB2_56 Depth 2
	s_delay_alu instid0(VALU_DEP_1) | instskip(SKIP_1) | instid1(VALU_DEP_1)
	v_lshlrev_b32_e32 v1, 2, v3
	s_mov_b32 s7, exec_lo
	v_add_nc_u32_e32 v4, 0, v1
	v_add_nc_u32_e32 v1, s5, v1
	ds_load_2addr_b32 v[5:6], v4 offset1:1
	s_waitcnt lgkmcnt(2)
	ds_load_b32 v12, v1
	s_waitcnt lgkmcnt(1)
	ds_store_b32 v1, v5
	v_cmpx_ne_u32_e64 v5, v6
	s_cbranch_execz .LBB2_52
; %bb.54:                               ;   in Loop: Header=BB2_53 Depth=1
	v_mov_b32_e32 v4, v2
	v_cmp_lt_i32_e64 s2, v5, v6
	s_delay_alu instid0(VALU_DEP_2) | instskip(NEXT) | instid1(VALU_DEP_1)
	v_lshlrev_b64 v[13:14], 2, v[3:4]
	v_add_co_u32 v13, vcc_lo, s20, v13
	s_delay_alu instid0(VALU_DEP_2) | instskip(SKIP_4) | instid1(SALU_CYCLE_1)
	v_add_co_ci_u32_e32 v14, vcc_lo, s21, v14, vcc_lo
	global_load_b32 v1, v[13:14], off
	s_waitcnt vmcnt(0)
	v_cmp_ne_u32_e32 vcc_lo, 0, v1
	s_and_b32 s2, s2, vcc_lo
	s_and_b32 exec_lo, exec_lo, s2
	s_cbranch_execz .LBB2_52
; %bb.55:                               ;   in Loop: Header=BB2_53 Depth=1
	s_mov_b32 s13, 0
	.p2align	6
.LBB2_56:                               ;   Parent Loop BB2_53 Depth=1
                                        ; =>  This Inner Loop Header: Depth=2
	v_mul_hi_u32 v1, s10, v5
	s_delay_alu instid0(VALU_DEP_1) | instskip(SKIP_1) | instid1(VALU_DEP_2)
	v_add_nc_u32_e32 v1, v5, v1
	v_add_nc_u32_e32 v5, s9, v5
	v_lshrrev_b32_e32 v1, s11, v1
	s_delay_alu instid0(VALU_DEP_2) | instskip(NEXT) | instid1(VALU_DEP_2)
	v_cmp_ge_i32_e32 vcc_lo, v5, v6
	v_lshlrev_b64 v[13:14], 2, v[1:2]
	s_or_b32 s13, vcc_lo, s13
	s_delay_alu instid0(VALU_DEP_1) | instskip(NEXT) | instid1(VALU_DEP_1)
	v_add_co_u32 v13, s2, s28, v13
	v_add_co_ci_u32_e64 v14, s2, s29, v14, s2
	s_waitcnt lgkmcnt(1)
	global_store_b32 v[13:14], v12, off
	s_and_not1_b32 exec_lo, exec_lo, s13
	s_cbranch_execnz .LBB2_56
	s_branch .LBB2_52
.LBB2_57:
	s_or_b32 exec_lo, exec_lo, s3
	s_add_i32 s2, s8, s4
	s_delay_alu instid0(SALU_CYCLE_1)
	v_dual_mov_b32 v1, s8 :: v_dual_mov_b32 v2, s2
	s_waitcnt lgkmcnt(0)
	s_waitcnt_vscnt null, 0x0
	s_barrier
	buffer_gl0_inv
	ds_load_b32 v1, v1
	s_and_not1_b32 vcc_lo, exec_lo, s33
	s_waitcnt lgkmcnt(0)
	ds_store_b32 v2, v1 offset:4
	s_cbranch_vccnz .LBB2_71
; %bb.58:
	s_add_u32 s6, s24, -4
	s_addc_u32 s7, s25, -1
	s_add_u32 s8, s18, -4
	s_addc_u32 s9, s19, -1
	s_add_u32 s10, s26, -4
	s_addc_u32 s11, s27, -1
	s_lshl_b32 s2, s36, 3
	v_and_b32_e32 v1, 8, v11
	v_add3_u32 v2, v10, s2, v9
	v_mul_lo_u32 v3, s12, v7
	v_cmp_gt_i32_e32 vcc_lo, s23, v7
	v_lshl_or_b32 v4, v0, 2, 28
	s_lshl_b32 s16, s36, 5
	v_add3_u32 v5, v2, 0, 8
	v_mov_b32_e32 v2, 0
	v_cmp_eq_u32_e64 s2, 0, v1
	s_mov_b32 s13, 0
	s_lshl_b32 s14, s12, 3
	s_add_i32 s16, s16, 32
	s_branch .LBB2_60
.LBB2_59:                               ;   in Loop: Header=BB2_60 Depth=1
	s_or_b32 exec_lo, exec_lo, s17
	v_add_nc_u32_e32 v3, s15, v3
	s_add_i32 s13, s13, s23
	s_waitcnt lgkmcnt(0)
	s_waitcnt_vscnt null, 0x0
	s_cmp_ge_i32 s13, s22
	s_barrier
	buffer_gl0_inv
	s_cbranch_scc1 .LBB2_71
.LBB2_60:                               ; =>This Loop Header: Depth=1
                                        ;     Child Loop BB2_65 Depth 2
                                        ;       Child Loop BB2_69 Depth 3
	s_and_saveexec_b32 s17, s0
	s_cbranch_execz .LBB2_59
; %bb.61:                               ;   in Loop: Header=BB2_60 Depth=1
	v_dual_mov_b32 v6, v5 :: v_dual_mov_b32 v1, v8
	s_mov_b32 s18, 0
	s_branch .LBB2_65
.LBB2_62:                               ;   in Loop: Header=BB2_65 Depth=2
	s_or_b32 exec_lo, exec_lo, s29
.LBB2_63:                               ;   in Loop: Header=BB2_65 Depth=2
	s_delay_alu instid0(SALU_CYCLE_1)
	s_or_b32 exec_lo, exec_lo, s28
	s_waitcnt lgkmcnt(0)
	ds_store_b32 v9, v10
.LBB2_64:                               ;   in Loop: Header=BB2_65 Depth=2
	s_or_b32 exec_lo, exec_lo, s19
	v_add_nc_u32_e32 v1, 32, v1
	v_add_nc_u32_e32 v6, 0x80, v6
	s_delay_alu instid0(VALU_DEP_2) | instskip(NEXT) | instid1(VALU_DEP_1)
	v_cmp_le_i32_e64 s3, s36, v1
	s_or_b32 s18, s3, s18
	s_delay_alu instid0(SALU_CYCLE_1)
	s_and_not1_b32 exec_lo, exec_lo, s18
	s_cbranch_execz .LBB2_59
.LBB2_65:                               ;   Parent Loop BB2_60 Depth=1
                                        ; =>  This Loop Header: Depth=2
                                        ;       Child Loop BB2_69 Depth 3
	s_delay_alu instid0(VALU_DEP_1) | instskip(SKIP_1) | instid1(VALU_DEP_1)
	v_lshlrev_b64 v[9:10], 2, v[1:2]
	s_mov_b32 s19, exec_lo
	v_add_co_u32 v9, s3, s20, v9
	s_delay_alu instid0(VALU_DEP_1)
	v_add_co_ci_u32_e64 v10, s3, s21, v10, s3
	global_load_b32 v9, v[9:10], off
	s_waitcnt vmcnt(0)
	v_cmpx_ne_u32_e32 0, v9
	s_cbranch_execz .LBB2_64
; %bb.66:                               ;   in Loop: Header=BB2_65 Depth=2
	v_lshl_add_u32 v9, v1, 2, 0
	ds_load_b32 v10, v9
	s_and_saveexec_b32 s28, vcc_lo
	s_cbranch_execz .LBB2_63
; %bb.67:                               ;   in Loop: Header=BB2_65 Depth=2
	v_dual_mov_b32 v11, v6 :: v_dual_mov_b32 v12, v3
	v_mov_b32_e32 v13, v7
	s_mov_b32 s29, 0
	s_branch .LBB2_69
.LBB2_68:                               ;   in Loop: Header=BB2_69 Depth=3
	s_or_b32 exec_lo, exec_lo, s4
	ds_bpermute_b32 v14, v4, v14
	v_add_nc_u32_e32 v13, 8, v13
	v_add_nc_u32_e32 v12, s14, v12
	;; [unrolled: 1-line block ×3, first 2 shown]
	s_delay_alu instid0(VALU_DEP_3) | instskip(NEXT) | instid1(VALU_DEP_1)
	v_cmp_le_i32_e64 s3, s23, v13
	s_or_b32 s29, s3, s29
	s_waitcnt lgkmcnt(0)
	v_add_nc_u32_e32 v10, v14, v10
	s_and_not1_b32 exec_lo, exec_lo, s29
	s_cbranch_execz .LBB2_62
.LBB2_69:                               ;   Parent Loop BB2_60 Depth=1
                                        ;     Parent Loop BB2_65 Depth=2
                                        ; =>    This Inner Loop Header: Depth=3
	ds_load_b32 v15, v11
	s_waitcnt lgkmcnt(0)
	v_cmp_ne_u32_e64 s3, 0, v15
	s_delay_alu instid0(VALU_DEP_1) | instskip(NEXT) | instid1(VALU_DEP_1)
	v_cndmask_b32_e64 v14, 0, 1, s3
	v_mov_b32_dpp v14, v14 row_shr:1 row_mask:0xf bank_mask:0xf bound_ctrl:1
	s_delay_alu instid0(VALU_DEP_1) | instskip(NEXT) | instid1(VALU_DEP_1)
	v_add_co_ci_u32_e64 v16, s4, 0, v14, s3
	v_mov_b32_dpp v16, v16 row_shr:2 row_mask:0xf bank_mask:0xf bound_ctrl:1
	s_delay_alu instid0(VALU_DEP_1) | instskip(NEXT) | instid1(VALU_DEP_1)
	v_add_co_ci_u32_e64 v14, s4, v16, v14, s3
	v_add_nc_u32_dpp v14, v14, v14 row_shr:4 row_mask:0xf bank_mask:0xf bound_ctrl:1
	s_delay_alu instid0(VALU_DEP_1) | instskip(NEXT) | instid1(VALU_DEP_1)
	v_add_nc_u32_dpp v14, v14, v14 row_shr:8 row_mask:0xf bank_mask:0xf bound_ctrl:1
	v_mov_b32_dpp v16, v14 row_share:7 row_mask:0xf bank_mask:0xf bound_ctrl:1
	s_delay_alu instid0(VALU_DEP_1) | instskip(NEXT) | instid1(VALU_DEP_1)
	v_cndmask_b32_e64 v16, v16, 0, s2
	v_sub_nc_u32_e32 v14, v14, v16
	s_and_saveexec_b32 s4, s3
	s_cbranch_execz .LBB2_68
; %bb.70:                               ;   in Loop: Header=BB2_69 Depth=3
	v_add_nc_u32_e32 v16, v12, v15
	v_add_nc_u32_e32 v18, s13, v13
	s_delay_alu instid0(VALU_DEP_2) | instskip(NEXT) | instid1(VALU_DEP_2)
	v_ashrrev_i32_e32 v17, 31, v16
	v_perm_b32 v18, v15, v18, 0x4020100
	s_delay_alu instid0(VALU_DEP_2) | instskip(NEXT) | instid1(VALU_DEP_2)
	v_lshlrev_b64 v[16:17], 2, v[16:17]
	v_add_nc_u32_e32 v20, 0xff000000, v18
	s_delay_alu instid0(VALU_DEP_2) | instskip(NEXT) | instid1(VALU_DEP_1)
	v_add_co_u32 v16, s3, s8, v16
	v_add_co_ci_u32_e64 v17, s3, s9, v17, s3
	global_load_b32 v19, v[16:17], off
	v_add_nc_u32_e32 v16, v14, v10
	s_delay_alu instid0(VALU_DEP_1) | instskip(NEXT) | instid1(VALU_DEP_1)
	v_ashrrev_i32_e32 v17, 31, v16
	v_lshlrev_b64 v[15:16], 2, v[16:17]
	s_delay_alu instid0(VALU_DEP_1) | instskip(NEXT) | instid1(VALU_DEP_1)
	v_add_co_u32 v17, s3, s6, v15
	v_add_co_ci_u32_e64 v18, s3, s7, v16, s3
	v_add_co_u32 v15, s3, s10, v15
	s_delay_alu instid0(VALU_DEP_1)
	v_add_co_ci_u32_e64 v16, s3, s11, v16, s3
	global_store_b32 v[17:18], v20, off
	s_waitcnt vmcnt(0)
	global_store_b32 v[15:16], v19, off
	s_branch .LBB2_68
.LBB2_71:
	s_and_saveexec_b32 s0, s1
	s_cbranch_execz .LBB2_77
; %bb.72:
	v_mov_b32_e32 v6, 0
	s_and_b32 s0, s22, 0xffffff
	s_lshl_b32 s1, s12, 24
	s_add_i32 s5, s5, 4
	s_or_b32 s1, s0, s1
	s_mov_b32 s2, 0
	s_set_inst_prefetch_distance 0x1
	s_branch .LBB2_74
	.p2align	6
.LBB2_73:                               ;   in Loop: Header=BB2_74 Depth=1
	s_or_b32 exec_lo, exec_lo, s3
	v_add_nc_u32_e32 v0, 0x100, v0
	s_delay_alu instid0(VALU_DEP_1) | instskip(SKIP_1) | instid1(SALU_CYCLE_1)
	v_cmp_le_i32_e32 vcc_lo, s36, v0
	s_or_b32 s2, vcc_lo, s2
	s_and_not1_b32 exec_lo, exec_lo, s2
	s_cbranch_execz .LBB2_77
.LBB2_74:                               ; =>This Loop Header: Depth=1
                                        ;     Child Loop BB2_76 Depth 2
	v_lshlrev_b32_e32 v1, 2, v0
	s_mov_b32 s3, exec_lo
	s_delay_alu instid0(VALU_DEP_1)
	v_add_nc_u32_e32 v2, 0, v1
	v_add_nc_u32_e32 v3, s5, v1
	ds_load_b32 v1, v2
	ds_load_b32 v7, v3
	s_waitcnt lgkmcnt(0)
	v_cmpx_lt_i32_e64 v1, v7
	s_cbranch_execz .LBB2_73
; %bb.75:                               ;   in Loop: Header=BB2_74 Depth=1
	v_ashrrev_i32_e32 v2, 31, v1
	s_mov_b32 s4, 0
	s_delay_alu instid0(VALU_DEP_1) | instskip(NEXT) | instid1(VALU_DEP_1)
	v_lshlrev_b64 v[4:5], 2, v[1:2]
	v_add_co_u32 v2, vcc_lo, s24, v4
	s_delay_alu instid0(VALU_DEP_2)
	v_add_co_ci_u32_e32 v3, vcc_lo, s25, v5, vcc_lo
	v_add_co_u32 v4, vcc_lo, s26, v4
	v_add_co_ci_u32_e32 v5, vcc_lo, s27, v5, vcc_lo
	.p2align	6
.LBB2_76:                               ;   Parent Loop BB2_74 Depth=1
                                        ; =>  This Inner Loop Header: Depth=2
	v_dual_mov_b32 v8, s1 :: v_dual_add_nc_u32 v1, 1, v1
	global_store_b32 v[4:5], v6, off
	v_add_co_u32 v4, vcc_lo, v4, 4
	v_add_co_ci_u32_e32 v5, vcc_lo, 0, v5, vcc_lo
	global_store_b32 v[2:3], v8, off
	v_cmp_ge_i32_e32 vcc_lo, v1, v7
	v_add_co_u32 v2, s0, v2, 4
	s_delay_alu instid0(VALU_DEP_1) | instskip(SKIP_1) | instid1(SALU_CYCLE_1)
	v_add_co_ci_u32_e64 v3, s0, 0, v3, s0
	s_or_b32 s4, vcc_lo, s4
	s_and_not1_b32 exec_lo, exec_lo, s4
	s_cbranch_execnz .LBB2_76
	s_branch .LBB2_73
.LBB2_77:
	s_set_inst_prefetch_distance 0x2
	s_nop 0
	s_sendmsg sendmsg(MSG_DEALLOC_VGPRS)
	s_endpgm
	.section	.rodata,"a",@progbits
	.p2align	6, 0x0
	.amdhsa_kernel _ZN5aiter22opus_moe_sorting_entryINS_16MoeSortingKernelINS_19MoeSortingProblemExIifLi4ELb1ELb1ELb1ELb1ELi0EEEEENS4_5KargsEEEvT0_
		.amdhsa_group_segment_fixed_size 0
		.amdhsa_private_segment_fixed_size 0
		.amdhsa_kernarg_size 400
		.amdhsa_user_sgpr_count 15
		.amdhsa_user_sgpr_dispatch_ptr 0
		.amdhsa_user_sgpr_queue_ptr 0
		.amdhsa_user_sgpr_kernarg_segment_ptr 1
		.amdhsa_user_sgpr_dispatch_id 0
		.amdhsa_user_sgpr_private_segment_size 0
		.amdhsa_wavefront_size32 1
		.amdhsa_uses_dynamic_stack 0
		.amdhsa_enable_private_segment 0
		.amdhsa_system_sgpr_workgroup_id_x 1
		.amdhsa_system_sgpr_workgroup_id_y 0
		.amdhsa_system_sgpr_workgroup_id_z 0
		.amdhsa_system_sgpr_workgroup_info 0
		.amdhsa_system_vgpr_workitem_id 0
		.amdhsa_next_free_vgpr 27
		.amdhsa_next_free_sgpr 40
		.amdhsa_reserve_vcc 1
		.amdhsa_float_round_mode_32 0
		.amdhsa_float_round_mode_16_64 0
		.amdhsa_float_denorm_mode_32 3
		.amdhsa_float_denorm_mode_16_64 3
		.amdhsa_dx10_clamp 1
		.amdhsa_ieee_mode 1
		.amdhsa_fp16_overflow 0
		.amdhsa_workgroup_processor_mode 1
		.amdhsa_memory_ordered 1
		.amdhsa_forward_progress 0
		.amdhsa_shared_vgpr_count 0
		.amdhsa_exception_fp_ieee_invalid_op 0
		.amdhsa_exception_fp_denorm_src 0
		.amdhsa_exception_fp_ieee_div_zero 0
		.amdhsa_exception_fp_ieee_overflow 0
		.amdhsa_exception_fp_ieee_underflow 0
		.amdhsa_exception_fp_ieee_inexact 0
		.amdhsa_exception_int_div_zero 0
	.end_amdhsa_kernel
	.section	.text._ZN5aiter22opus_moe_sorting_entryINS_16MoeSortingKernelINS_19MoeSortingProblemExIifLi4ELb1ELb1ELb1ELb1ELi0EEEEENS4_5KargsEEEvT0_,"axG",@progbits,_ZN5aiter22opus_moe_sorting_entryINS_16MoeSortingKernelINS_19MoeSortingProblemExIifLi4ELb1ELb1ELb1ELb1ELi0EEEEENS4_5KargsEEEvT0_,comdat
.Lfunc_end2:
	.size	_ZN5aiter22opus_moe_sorting_entryINS_16MoeSortingKernelINS_19MoeSortingProblemExIifLi4ELb1ELb1ELb1ELb1ELi0EEEEENS4_5KargsEEEvT0_, .Lfunc_end2-_ZN5aiter22opus_moe_sorting_entryINS_16MoeSortingKernelINS_19MoeSortingProblemExIifLi4ELb1ELb1ELb1ELb1ELi0EEEEENS4_5KargsEEEvT0_
                                        ; -- End function
	.section	.AMDGPU.csdata,"",@progbits
; Kernel info:
; codeLenInByte = 3876
; NumSgprs: 42
; NumVgprs: 27
; ScratchSize: 0
; MemoryBound: 0
; FloatMode: 240
; IeeeMode: 1
; LDSByteSize: 0 bytes/workgroup (compile time only)
; SGPRBlocks: 5
; VGPRBlocks: 3
; NumSGPRsForWavesPerEU: 42
; NumVGPRsForWavesPerEU: 27
; Occupancy: 16
; WaveLimiterHint : 1
; COMPUTE_PGM_RSRC2:SCRATCH_EN: 0
; COMPUTE_PGM_RSRC2:USER_SGPR: 15
; COMPUTE_PGM_RSRC2:TRAP_HANDLER: 0
; COMPUTE_PGM_RSRC2:TGID_X_EN: 1
; COMPUTE_PGM_RSRC2:TGID_Y_EN: 0
; COMPUTE_PGM_RSRC2:TGID_Z_EN: 0
; COMPUTE_PGM_RSRC2:TIDIG_COMP_CNT: 0
	.section	.text._ZN5aiter22opus_moe_sorting_entryINS_16MoeSortingKernelINS_19MoeSortingProblemExIifLi2ELb1ELb1ELb1ELb1ELi0EEEEENS4_5KargsEEEvT0_,"axG",@progbits,_ZN5aiter22opus_moe_sorting_entryINS_16MoeSortingKernelINS_19MoeSortingProblemExIifLi2ELb1ELb1ELb1ELb1ELi0EEEEENS4_5KargsEEEvT0_,comdat
	.protected	_ZN5aiter22opus_moe_sorting_entryINS_16MoeSortingKernelINS_19MoeSortingProblemExIifLi2ELb1ELb1ELb1ELb1ELi0EEEEENS4_5KargsEEEvT0_ ; -- Begin function _ZN5aiter22opus_moe_sorting_entryINS_16MoeSortingKernelINS_19MoeSortingProblemExIifLi2ELb1ELb1ELb1ELb1ELi0EEEEENS4_5KargsEEEvT0_
	.globl	_ZN5aiter22opus_moe_sorting_entryINS_16MoeSortingKernelINS_19MoeSortingProblemExIifLi2ELb1ELb1ELb1ELb1ELi0EEEEENS4_5KargsEEEvT0_
	.p2align	8
	.type	_ZN5aiter22opus_moe_sorting_entryINS_16MoeSortingKernelINS_19MoeSortingProblemExIifLi2ELb1ELb1ELb1ELb1ELi0EEEEENS4_5KargsEEEvT0_,@function
_ZN5aiter22opus_moe_sorting_entryINS_16MoeSortingKernelINS_19MoeSortingProblemExIifLi2ELb1ELb1ELb1ELb1ELi0EEEEENS4_5KargsEEEvT0_: ; @_ZN5aiter22opus_moe_sorting_entryINS_16MoeSortingKernelINS_19MoeSortingProblemExIifLi2ELb1ELb1ELb1ELb1ELi0EEEEENS4_5KargsEEEvT0_
; %bb.0:
	s_clause 0x2
	s_load_b512 s[16:31], s[0:1], 0x0
	s_load_b128 s[40:43], s[0:1], 0x40
	s_load_b128 s[36:39], s[0:1], 0x54
	s_cmp_eq_u32 s15, 0
	s_waitcnt lgkmcnt(0)
	s_load_b32 s14, s[22:23], 0x0
	s_cbranch_scc1 .LBB3_7
; %bb.1:
	s_cmp_eq_u64 s[40:41], 0
	s_cbranch_scc1 .LBB3_6
; %bb.2:
	s_waitcnt lgkmcnt(0)
	s_ashr_i32 s2, s14, 31
	s_mul_i32 s3, s38, s37
	s_mul_hi_i32 s5, s38, s37
	s_mul_i32 s2, s3, s2
	s_mul_hi_u32 s4, s3, s14
	s_mul_i32 s5, s5, s14
	s_add_i32 s2, s4, s2
	s_mul_i32 s3, s3, s14
	s_add_i32 s4, s2, s5
	v_mov_b32_e32 v2, 0
	s_ashr_i32 s2, s4, 31
	s_mov_b32 s7, 0
	s_lshr_b32 s2, s2, 28
	s_delay_alu instid0(SALU_CYCLE_1) | instskip(SKIP_2) | instid1(SALU_CYCLE_1)
	s_add_u32 s2, s3, s2
	s_addc_u32 s3, s4, 0
	s_lshl_b32 s4, s15, 8
	v_add3_u32 v1, v0, s4, 0xffffff00
	s_ashr_i64 s[4:5], s[2:3], 4
	s_mov_b32 s3, exec_lo
	s_delay_alu instid0(VALU_DEP_1)
	v_cmpx_gt_i64_e64 s[4:5], v[1:2]
	s_cbranch_execz .LBB3_5
; %bb.3:
	s_load_b32 s2, s[0:1], 0x90
	v_lshlrev_b64 v[3:4], 4, v[1:2]
	v_dual_mov_b32 v6, v2 :: v_dual_mov_b32 v5, v1
	v_mov_b32_e32 v1, v2
	s_delay_alu instid0(VALU_DEP_3) | instskip(NEXT) | instid1(VALU_DEP_4)
	v_add_co_u32 v7, vcc_lo, s40, v3
	v_add_co_ci_u32_e32 v8, vcc_lo, s41, v4, vcc_lo
	v_mov_b32_e32 v3, v2
	v_mov_b32_e32 v4, v2
	s_waitcnt lgkmcnt(0)
	s_lshl_b32 s2, s2, 8
	s_delay_alu instid0(SALU_CYCLE_1) | instskip(NEXT) | instid1(SALU_CYCLE_1)
	s_add_i32 s6, s2, 0xffffff00
	s_lshl_b64 s[8:9], s[6:7], 4
.LBB3_4:                                ; =>This Inner Loop Header: Depth=1
	v_add_co_u32 v5, vcc_lo, v5, s6
	v_add_co_ci_u32_e32 v6, vcc_lo, 0, v6, vcc_lo
	global_store_b128 v[7:8], v[1:4], off
	v_add_co_u32 v7, s2, v7, s8
	v_cmp_le_i64_e32 vcc_lo, s[4:5], v[5:6]
	v_add_co_ci_u32_e64 v8, s2, s9, v8, s2
	s_or_b32 s7, vcc_lo, s7
	s_delay_alu instid0(SALU_CYCLE_1)
	s_and_not1_b32 exec_lo, exec_lo, s7
	s_cbranch_execnz .LBB3_4
.LBB3_5:
	s_or_b32 exec_lo, exec_lo, s3
.LBB3_6:
	s_cbranch_execz .LBB3_8
	s_branch .LBB3_77
.LBB3_7:
.LBB3_8:
	s_clause 0x1
	s_load_b256 s[4:11], s[0:1], 0x64
	s_load_b64 s[0:1], s[0:1], 0x84
	v_lshrrev_b32_e32 v1, 5, v0
	s_add_i32 s33, s36, 1
	s_mov_b32 s34, exec_lo
	s_delay_alu instid0(VALU_DEP_1) | instskip(SKIP_2) | instid1(SALU_CYCLE_1)
	v_readfirstlane_b32 s23, v1
	s_waitcnt lgkmcnt(0)
	s_add_i32 s15, s4, -2
	s_mul_i32 s22, s15, s36
	s_delay_alu instid0(SALU_CYCLE_1)
	v_cmpx_gt_i32_e64 s22, v0
	s_cbranch_execz .LBB3_11
; %bb.9:
	v_dual_mov_b32 v4, 0 :: v_dual_lshlrev_b32 v3, 2, v0
	s_lshl_b32 s2, s36, 3
	v_mad_u64_u32 v[1:2], null, v0, s0, 0
	s_add_i32 s2, s2, 0
	v_mov_b32_e32 v5, v0
	v_add3_u32 v3, s2, v3, 8
	s_mov_b32 s3, 0
	s_sub_i32 s11, s33, s11
	s_mov_b32 s2, s0
	s_lshl_b32 s11, s11, 2
	s_lshl_b64 s[12:13], s[2:3], 8
	.p2align	6
.LBB3_10:                               ; =>This Inner Loop Header: Depth=1
	v_add_nc_u32_e32 v6, v5, v2
	v_add_nc_u32_e32 v5, 0x100, v5
	v_add_co_u32 v1, vcc_lo, v1, s12
	v_add_co_ci_u32_e32 v2, vcc_lo, s13, v2, vcc_lo
	s_delay_alu instid0(VALU_DEP_4) | instskip(NEXT) | instid1(VALU_DEP_4)
	v_lshrrev_b32_e32 v8, s1, v6
	v_cmp_le_i32_e64 s0, s22, v5
	s_delay_alu instid0(VALU_DEP_2) | instskip(SKIP_1) | instid1(VALU_DEP_3)
	v_mad_u64_u32 v[6:7], null, s11, v8, v[3:4]
	v_add_nc_u32_e32 v3, 0x400, v3
	s_or_b32 s3, s0, s3
	ds_store_b32 v6, v4
	s_and_not1_b32 exec_lo, exec_lo, s3
	s_cbranch_execnz .LBB3_10
.LBB3_11:
	s_or_b32 exec_lo, exec_lo, s34
	s_cmp_gt_i32 s14, 0
	s_mov_b32 s3, 0
	s_cselect_b32 s22, -1, 0
	s_cmp_lt_i32 s14, 1
	s_mul_i32 s11, s8, s15
	s_waitcnt lgkmcnt(0)
	s_waitcnt_vscnt null, 0x0
	s_barrier
	buffer_gl0_inv
	s_cbranch_scc1 .LBB3_19
; %bb.12:
	v_mad_u64_u32 v[1:2], null, v0, s9, 0
	v_cmp_gt_i32_e32 vcc_lo, s11, v0
	v_mov_b32_e32 v4, 0
	s_lshl_b32 s0, s33, 3
	s_mov_b32 s2, s9
	s_add_i32 s34, s0, 0
	s_sub_i32 s9, 0, s8
	s_lshl_b64 s[12:13], s[2:3], 8
	s_mov_b32 s2, 0
	s_branch .LBB3_14
.LBB3_13:                               ;   in Loop: Header=BB3_14 Depth=1
	s_set_inst_prefetch_distance 0x2
	s_or_b32 exec_lo, exec_lo, s35
	s_add_i32 s2, s2, s15
	s_add_i32 s3, s3, s11
	s_cmp_ge_i32 s2, s14
	s_waitcnt lgkmcnt(0)
	s_barrier
	buffer_gl0_inv
	s_cbranch_scc1 .LBB3_19
.LBB3_14:                               ; =>This Loop Header: Depth=1
                                        ;     Child Loop BB3_17 Depth 2
	s_and_saveexec_b32 s35, vcc_lo
	s_cbranch_execz .LBB3_13
; %bb.15:                               ;   in Loop: Header=BB3_14 Depth=1
	v_dual_mov_b32 v6, v2 :: v_dual_mov_b32 v5, v1
	v_mov_b32_e32 v7, v0
	s_mov_b32 s37, 0
	s_set_inst_prefetch_distance 0x1
	s_branch .LBB3_17
	.p2align	6
.LBB3_16:                               ;   in Loop: Header=BB3_17 Depth=2
	s_or_b32 exec_lo, exec_lo, s1
	v_add_nc_u32_e32 v7, 0x100, v7
	v_add_co_u32 v5, s1, v5, s12
	s_delay_alu instid0(VALU_DEP_1) | instskip(NEXT) | instid1(VALU_DEP_3)
	v_add_co_ci_u32_e64 v6, s1, s13, v6, s1
	v_cmp_le_i32_e64 s0, s11, v7
	s_waitcnt vmcnt(48) lgkmcnt(7)
	s_delay_alu instid0(VALU_DEP_1) | instskip(NEXT) | instid1(SALU_CYCLE_1)
	s_or_b32 s37, s0, s37
	s_and_not1_b32 exec_lo, exec_lo, s37
	s_cbranch_execz .LBB3_13
.LBB3_17:                               ;   Parent Loop BB3_14 Depth=1
                                        ; =>  This Inner Loop Header: Depth=2
	s_delay_alu instid0(VALU_DEP_1) | instskip(SKIP_1) | instid1(VALU_DEP_1)
	v_add_nc_u32_e32 v3, v7, v6
	s_mov_b32 s1, exec_lo
	v_lshrrev_b32_e32 v8, s10, v3
	s_delay_alu instid0(VALU_DEP_1) | instskip(NEXT) | instid1(VALU_DEP_1)
	v_add_nc_u32_e32 v3, s2, v8
	v_cmpx_gt_i32_e64 s14, v3
	s_cbranch_execz .LBB3_16
; %bb.18:                               ;   in Loop: Header=BB3_17 Depth=2
	v_add_nc_u32_e32 v3, s3, v7
	s_delay_alu instid0(VALU_DEP_1) | instskip(NEXT) | instid1(VALU_DEP_1)
	v_lshlrev_b64 v[9:10], 2, v[3:4]
	v_add_co_u32 v9, s0, s16, v9
	s_delay_alu instid0(VALU_DEP_1) | instskip(SKIP_3) | instid1(VALU_DEP_2)
	v_add_co_ci_u32_e64 v10, s0, s17, v10, s0
	global_load_b32 v3, v[9:10], off
	v_mul_lo_u32 v9, v8, s33
	v_mul_lo_u32 v8, s9, v8
	v_lshlrev_b32_e32 v9, 2, v9
	s_delay_alu instid0(VALU_DEP_2) | instskip(SKIP_2) | instid1(VALU_DEP_1)
	v_add3_u32 v8, v7, v8, 1
	s_waitcnt vmcnt(0)
	v_lshlrev_b32_e32 v3, 2, v3
	v_add3_u32 v3, s34, v3, v9
	ds_store_b32 v3, v8
	s_branch .LBB3_16
.LBB3_19:
	s_mov_b32 s0, exec_lo
	v_cmpx_eq_u32_e32 0, v0
	s_cbranch_execz .LBB3_21
; %bb.20:
	v_mov_b32_e32 v1, 0
	ds_store_b32 v1, v1
.LBB3_21:
	s_or_b32 exec_lo, exec_lo, s0
	v_and_b32_e32 v7, 7, v0
	v_lshrrev_b32_e32 v8, 3, v0
	v_mbcnt_lo_u32_b32 v11, -1, 0
	s_mov_b32 s10, 0
	s_delay_alu instid0(VALU_DEP_3) | instskip(NEXT) | instid1(VALU_DEP_3)
	v_mul_lo_u32 v1, s33, v7
	v_cmp_gt_i32_e64 s0, s36, v8
	v_lshlrev_b32_e32 v10, 2, v8
	s_delay_alu instid0(VALU_DEP_3) | instskip(NEXT) | instid1(VALU_DEP_3)
	v_lshlrev_b32_e32 v9, 2, v1
	s_and_saveexec_b32 s9, s0
	s_cbranch_execz .LBB3_29
; %bb.22:
	s_cmp_gt_i32 s4, 2
	s_mul_i32 s1, s36, 40
	s_cselect_b32 s4, -1, 0
	s_lshl_b32 s2, s36, 3
	v_dual_mov_b32 v6, v8 :: v_dual_lshlrev_b32 v3, 2, v11
	v_add3_u32 v4, v9, s1, v10
	v_add3_u32 v5, v9, s2, v10
	v_cmp_eq_u32_e64 s1, 0, v7
	s_delay_alu instid0(VALU_DEP_4)
	v_xor_b32_e32 v1, 4, v3
	v_xor_b32_e32 v2, 8, v3
	v_xor_b32_e32 v3, 16, v3
	v_add3_u32 v4, v4, 0, 40
	v_add3_u32 v5, v5, 0, 8
	s_lshl_b32 s12, s36, 6
	s_delay_alu instid0(SALU_CYCLE_1)
	s_add_i32 s12, s12, 64
	s_branch .LBB3_24
.LBB3_23:                               ;   in Loop: Header=BB3_24 Depth=1
	s_or_b32 exec_lo, exec_lo, s2
	v_add_nc_u32_e32 v6, 32, v6
	v_add_nc_u32_e32 v4, 0x80, v4
	;; [unrolled: 1-line block ×3, first 2 shown]
	s_delay_alu instid0(VALU_DEP_3) | instskip(SKIP_1) | instid1(SALU_CYCLE_1)
	v_cmp_le_i32_e32 vcc_lo, s36, v6
	s_or_b32 s10, vcc_lo, s10
	s_and_not1_b32 exec_lo, exec_lo, s10
	s_cbranch_execz .LBB3_29
.LBB3_24:                               ; =>This Loop Header: Depth=1
                                        ;     Child Loop BB3_26 Depth 2
	v_mov_b32_e32 v12, 0
	s_and_not1_b32 vcc_lo, exec_lo, s4
	s_cbranch_vccnz .LBB3_27
; %bb.25:                               ;   in Loop: Header=BB3_24 Depth=1
	v_mov_b32_e32 v12, 0
	s_mov_b32 s13, 0
	s_mov_b32 s33, 0
	s_set_inst_prefetch_distance 0x1
	.p2align	6
.LBB3_26:                               ;   Parent Loop BB3_24 Depth=1
                                        ; =>  This Inner Loop Header: Depth=2
	v_add_nc_u32_e32 v13, s13, v5
	v_add_nc_u32_e32 v14, s13, v4
	s_add_i32 s33, s33, 16
	s_add_i32 s13, s13, s12
	s_cmp_lt_i32 s33, s15
	ds_load_b32 v13, v13
	ds_load_b32 v14, v14
	s_waitcnt lgkmcnt(1)
	v_cmp_ne_u32_e32 vcc_lo, 0, v13
	s_waitcnt lgkmcnt(0)
	v_cmp_ne_u32_e64 s2, 0, v14
	v_cndmask_b32_e64 v13, 0, 1, vcc_lo
	s_delay_alu instid0(VALU_DEP_2)
	v_cndmask_b32_e64 v14, 0, 1, s2
	ds_bpermute_b32 v13, v1, v13
	ds_bpermute_b32 v14, v1, v14
	s_waitcnt lgkmcnt(1)
	v_add_co_ci_u32_e64 v15, s3, 0, v13, vcc_lo
	s_waitcnt lgkmcnt(0)
	v_add_co_ci_u32_e64 v16, s3, 0, v14, s2
	ds_bpermute_b32 v15, v2, v15
	ds_bpermute_b32 v16, v2, v16
	s_waitcnt lgkmcnt(1)
	v_add_co_ci_u32_e32 v13, vcc_lo, v15, v13, vcc_lo
	s_waitcnt lgkmcnt(0)
	v_add_co_ci_u32_e64 v14, vcc_lo, v16, v14, s2
	ds_bpermute_b32 v15, v3, v13
	ds_bpermute_b32 v16, v3, v14
	s_waitcnt lgkmcnt(1)
	v_add3_u32 v12, v13, v12, v15
	s_waitcnt lgkmcnt(0)
	s_delay_alu instid0(VALU_DEP_1)
	v_add3_u32 v12, v12, v14, v16
	s_cbranch_scc1 .LBB3_26
.LBB3_27:                               ;   in Loop: Header=BB3_24 Depth=1
	s_set_inst_prefetch_distance 0x2
	s_and_saveexec_b32 s2, s1
	s_cbranch_execz .LBB3_23
; %bb.28:                               ;   in Loop: Header=BB3_24 Depth=1
	v_lshl_add_u32 v13, v6, 2, 0
	ds_store_b32 v13, v12 offset:4
	s_branch .LBB3_23
.LBB3_29:
	s_or_b32 exec_lo, exec_lo, s9
	s_lshl_b32 s4, s36, 2
	v_cmp_gt_i32_e64 s1, s36, v0
	s_add_i32 s10, s4, 0
	s_delay_alu instid0(SALU_CYCLE_1)
	v_dual_mov_b32 v1, 0 :: v_dual_mov_b32 v2, s10
	s_mov_b32 s3, 0
	ds_store_b32 v2, v1 offset:4
	s_and_saveexec_b32 s9, s1
	s_cbranch_execz .LBB3_32
; %bb.30:
	v_dual_mov_b32 v4, v0 :: v_dual_lshlrev_b32 v1, 2, v0
	s_delay_alu instid0(VALU_DEP_1) | instskip(SKIP_1) | instid1(VALU_DEP_1)
	v_add3_u32 v3, s10, v1, 8
	v_add_co_u32 v1, s2, s20, v1
	v_add_co_ci_u32_e64 v2, null, s21, 0, s2
	.p2align	6
.LBB3_31:                               ; =>This Inner Loop Header: Depth=1
	global_load_b32 v5, v[1:2], off
	v_add_nc_u32_e32 v4, 0x100, v4
	v_add_co_u32 v1, vcc_lo, 0x400, v1
	v_add_co_ci_u32_e32 v2, vcc_lo, 0, v2, vcc_lo
	s_delay_alu instid0(VALU_DEP_3) | instskip(NEXT) | instid1(VALU_DEP_1)
	v_cmp_le_i32_e64 s2, s36, v4
	s_or_b32 s3, s2, s3
	s_waitcnt vmcnt(0)
	ds_store_b32 v3, v5
	v_add_nc_u32_e32 v3, 0x400, v3
	s_and_not1_b32 exec_lo, exec_lo, s3
	s_cbranch_execnz .LBB3_31
.LBB3_32:
	s_or_b32 exec_lo, exec_lo, s9
	s_add_i32 s9, s10, 4
	s_cmp_lg_u32 s23, 0
	s_mov_b32 s12, 0
	s_waitcnt lgkmcnt(0)
	s_barrier
	buffer_gl0_inv
	s_cbranch_scc1 .LBB3_43
; %bb.33:
	v_mov_b32_e32 v1, 0
	s_cmp_lt_i32 s36, 1
	s_cbranch_scc1 .LBB3_40
; %bb.34:
	v_lshlrev_b32_e32 v1, 2, v11
	v_cmp_eq_u32_e32 vcc_lo, 0, v11
	v_cmp_lt_u32_e64 s2, 15, v11
	s_add_i32 s13, s5, -1
	s_delay_alu instid0(VALU_DEP_3) | instskip(SKIP_1) | instid1(VALU_DEP_2)
	v_and_b32_e32 v2, 64, v1
	v_add_nc_u32_e32 v3, 0, v1
	v_add_nc_u32_e32 v2, -4, v2
	s_branch .LBB3_36
.LBB3_35:                               ;   in Loop: Header=BB3_36 Depth=1
	s_or_b32 exec_lo, exec_lo, s23
	v_add_nc_u32_e32 v3, 0x80, v3
	s_add_i32 s12, s12, 32
	s_waitcnt vmcnt(48) lgkmcnt(7)
	s_cmp_lt_i32 s12, s36
	s_cbranch_scc0 .LBB3_40
.LBB3_36:                               ; =>This Inner Loop Header: Depth=1
	ds_load_b32 v1, v3 offset:4
	v_add_nc_u32_e32 v4, s4, v3
	s_waitcnt lgkmcnt(1)
	v_cndmask_b32_e64 v6, 0, s12, vcc_lo
	ds_load_b32 v5, v4 offset:8
	v_lshlrev_b32_e32 v6, 2, v6
	s_delay_alu instid0(VALU_DEP_1) | instskip(SKIP_4) | instid1(VALU_DEP_1)
	v_add_nc_u32_e32 v13, 0, v6
	v_add_nc_u32_e32 v6, s9, v6
	ds_load_b32 v6, v6
	s_waitcnt lgkmcnt(2)
	v_add_nc_u32_e32 v1, s13, v1
	v_mul_hi_u32 v12, v1, s6
	s_waitcnt lgkmcnt(1)
	v_cmp_ne_u32_e64 s3, 0, v5
	s_delay_alu instid0(VALU_DEP_2) | instskip(SKIP_3) | instid1(VALU_DEP_1)
	v_add_nc_u32_e32 v1, v1, v12
	ds_load_b32 v12, v13
	v_add_nc_u32_e32 v13, s12, v11
	v_lshrrev_b32_e32 v1, s7, v1
	v_mul_lo_u32 v1, v1, s5
	s_delay_alu instid0(VALU_DEP_1) | instskip(NEXT) | instid1(VALU_DEP_4)
	v_cndmask_b32_e64 v1, 0, v1, s3
	v_cmp_gt_i32_e64 s3, s36, v13
	s_waitcnt lgkmcnt(0)
	s_delay_alu instid0(VALU_DEP_2) | instskip(NEXT) | instid1(VALU_DEP_1)
	v_add_nc_u32_e32 v1, v1, v12
	v_add_nc_u32_dpp v1, v1, v1 row_shr:1 row_mask:0xf bank_mask:0xf bound_ctrl:1
	s_delay_alu instid0(VALU_DEP_1) | instskip(NEXT) | instid1(VALU_DEP_1)
	v_add_nc_u32_dpp v1, v1, v1 row_shr:2 row_mask:0xf bank_mask:0xf bound_ctrl:1
	v_add_nc_u32_dpp v1, v1, v1 row_shr:4 row_mask:0xf bank_mask:0xf bound_ctrl:1
	s_delay_alu instid0(VALU_DEP_1) | instskip(SKIP_3) | instid1(VALU_DEP_1)
	v_add_nc_u32_dpp v1, v1, v1 row_shr:8 row_mask:0xf bank_mask:0xf bound_ctrl:1
	ds_bpermute_b32 v12, v2, v1
	s_waitcnt lgkmcnt(0)
	v_cndmask_b32_e64 v12, 0, v12, s2
	v_add_nc_u32_e32 v1, v1, v12
	s_and_saveexec_b32 s23, s3
	s_cbranch_execz .LBB3_38
; %bb.37:                               ;   in Loop: Header=BB3_36 Depth=1
	ds_store_b32 v3, v1 offset:4
.LBB3_38:                               ;   in Loop: Header=BB3_36 Depth=1
	s_or_b32 exec_lo, exec_lo, s23
	v_add_nc_u32_e32 v5, v5, v6
	s_delay_alu instid0(VALU_DEP_1) | instskip(NEXT) | instid1(VALU_DEP_1)
	v_add_nc_u32_dpp v5, v5, v5 row_shr:1 row_mask:0xf bank_mask:0xf bound_ctrl:1
	v_add_nc_u32_dpp v5, v5, v5 row_shr:2 row_mask:0xf bank_mask:0xf bound_ctrl:1
	s_delay_alu instid0(VALU_DEP_1) | instskip(NEXT) | instid1(VALU_DEP_1)
	v_add_nc_u32_dpp v5, v5, v5 row_shr:4 row_mask:0xf bank_mask:0xf bound_ctrl:1
	v_add_nc_u32_dpp v5, v5, v5 row_shr:8 row_mask:0xf bank_mask:0xf bound_ctrl:1
	ds_bpermute_b32 v6, v2, v5
	s_and_saveexec_b32 s23, s3
	s_cbranch_execz .LBB3_35
; %bb.39:                               ;   in Loop: Header=BB3_36 Depth=1
	s_waitcnt lgkmcnt(0)
	v_cndmask_b32_e64 v6, 0, v6, s2
	s_delay_alu instid0(VALU_DEP_1)
	v_add_nc_u32_e32 v5, v6, v5
	ds_store_b32 v4, v5 offset:8
	s_branch .LBB3_35
.LBB3_40:
	v_add3_u32 v2, v11, s12, 0xffffffe1
	s_mov_b32 s2, exec_lo
	s_delay_alu instid0(VALU_DEP_1)
	v_cmpx_eq_u32_e64 s36, v2
	s_cbranch_execz .LBB3_42
; %bb.41:
	v_dual_mov_b32 v3, 0 :: v_dual_mov_b32 v2, s14
	global_store_b64 v3, v[1:2], s[30:31]
.LBB3_42:
	s_or_b32 exec_lo, exec_lo, s2
.LBB3_43:
	s_cmp_eq_u64 s[42:43], 0
	s_waitcnt lgkmcnt(0)
	s_waitcnt_vscnt null, 0x0
	s_barrier
	buffer_gl0_inv
	s_cbranch_scc1 .LBB3_50
; %bb.44:
	s_mul_i32 s3, s14, s8
	s_mov_b32 s12, exec_lo
	v_cmpx_gt_i32_e64 s3, v0
	s_cbranch_execz .LBB3_49
; %bb.45:
	v_dual_mov_b32 v12, v0 :: v_dual_lshlrev_b32 v3, 2, v0
	s_mov_b32 s13, 0
	s_delay_alu instid0(VALU_DEP_1) | instskip(NEXT) | instid1(VALU_DEP_1)
	v_add_co_u32 v1, s2, s16, v3
	v_add_co_ci_u32_e64 v2, null, s17, 0, s2
	v_add_co_u32 v3, s2, s42, v3
	s_delay_alu instid0(VALU_DEP_1)
	v_add_co_ci_u32_e64 v4, null, s43, 0, s2
	s_set_inst_prefetch_distance 0x1
	s_branch .LBB3_47
	.p2align	6
.LBB3_46:                               ;   in Loop: Header=BB3_47 Depth=1
	s_or_b32 exec_lo, exec_lo, s2
	v_add_nc_u32_e32 v12, 0x100, v12
	v_add_co_u32 v1, vcc_lo, 0x400, v1
	v_add_co_ci_u32_e32 v2, vcc_lo, 0, v2, vcc_lo
	s_waitcnt lgkmcnt(0)
	global_store_b32 v[3:4], v6, off
	v_cmp_le_i32_e32 vcc_lo, s3, v12
	v_add_co_u32 v3, s2, 0x400, v3
	s_delay_alu instid0(VALU_DEP_1) | instskip(SKIP_1) | instid1(SALU_CYCLE_1)
	v_add_co_ci_u32_e64 v4, s2, 0, v4, s2
	s_or_b32 s13, vcc_lo, s13
	s_and_not1_b32 exec_lo, exec_lo, s13
	s_cbranch_execz .LBB3_49
.LBB3_47:                               ; =>This Inner Loop Header: Depth=1
	global_load_b32 v5, v[1:2], off
	s_waitcnt vmcnt(0)
	v_ashrrev_i32_e32 v6, 31, v5
	s_delay_alu instid0(VALU_DEP_1) | instskip(NEXT) | instid1(VALU_DEP_1)
	v_lshlrev_b64 v[13:14], 2, v[5:6]
	v_add_co_u32 v13, vcc_lo, s20, v13
	s_delay_alu instid0(VALU_DEP_2)
	v_add_co_ci_u32_e32 v14, vcc_lo, s21, v14, vcc_lo
	global_load_b32 v6, v[13:14], off
	s_waitcnt vmcnt(0)
	v_cmp_ne_u32_e32 vcc_lo, 0, v6
	v_mov_b32_e32 v6, -1
	s_and_saveexec_b32 s2, vcc_lo
	s_cbranch_execz .LBB3_46
; %bb.48:                               ;   in Loop: Header=BB3_47 Depth=1
	v_lshl_add_u32 v5, v5, 2, s9
	ds_load_b32 v6, v5
	s_branch .LBB3_46
.LBB3_49:
	s_set_inst_prefetch_distance 0x2
	s_or_b32 exec_lo, exec_lo, s12
	s_waitcnt_vscnt null, 0x0
	s_barrier
	buffer_gl0_inv
.LBB3_50:
	s_and_saveexec_b32 s3, s1
	s_cbranch_execz .LBB3_57
; %bb.51:
	v_dual_mov_b32 v2, 0 :: v_dual_mov_b32 v3, v0
	s_mov_b32 s12, 0
	s_branch .LBB3_53
.LBB3_52:                               ;   in Loop: Header=BB3_53 Depth=1
	s_or_b32 exec_lo, exec_lo, s13
	v_add_nc_u32_e32 v3, 0x100, v3
	s_delay_alu instid0(VALU_DEP_1) | instskip(SKIP_1) | instid1(SALU_CYCLE_1)
	v_cmp_le_i32_e32 vcc_lo, s36, v3
	s_or_b32 s12, vcc_lo, s12
	s_and_not1_b32 exec_lo, exec_lo, s12
	s_cbranch_execz .LBB3_57
.LBB3_53:                               ; =>This Loop Header: Depth=1
                                        ;     Child Loop BB3_56 Depth 2
	s_delay_alu instid0(VALU_DEP_1) | instskip(SKIP_1) | instid1(VALU_DEP_1)
	v_lshlrev_b32_e32 v1, 2, v3
	s_mov_b32 s13, exec_lo
	v_add_nc_u32_e32 v4, 0, v1
	v_add_nc_u32_e32 v1, s9, v1
	ds_load_2addr_b32 v[5:6], v4 offset1:1
	s_waitcnt lgkmcnt(2)
	ds_load_b32 v12, v1
	s_waitcnt lgkmcnt(1)
	ds_store_b32 v1, v5
	v_cmpx_ne_u32_e64 v5, v6
	s_cbranch_execz .LBB3_52
; %bb.54:                               ;   in Loop: Header=BB3_53 Depth=1
	v_mov_b32_e32 v4, v2
	v_cmp_lt_i32_e64 s2, v5, v6
	s_delay_alu instid0(VALU_DEP_2) | instskip(NEXT) | instid1(VALU_DEP_1)
	v_lshlrev_b64 v[13:14], 2, v[3:4]
	v_add_co_u32 v13, vcc_lo, s20, v13
	s_delay_alu instid0(VALU_DEP_2) | instskip(SKIP_4) | instid1(SALU_CYCLE_1)
	v_add_co_ci_u32_e32 v14, vcc_lo, s21, v14, vcc_lo
	global_load_b32 v1, v[13:14], off
	s_waitcnt vmcnt(0)
	v_cmp_ne_u32_e32 vcc_lo, 0, v1
	s_and_b32 s2, s2, vcc_lo
	s_and_b32 exec_lo, exec_lo, s2
	s_cbranch_execz .LBB3_52
; %bb.55:                               ;   in Loop: Header=BB3_53 Depth=1
	s_mov_b32 s16, 0
	.p2align	6
.LBB3_56:                               ;   Parent Loop BB3_53 Depth=1
                                        ; =>  This Inner Loop Header: Depth=2
	v_mul_hi_u32 v1, s6, v5
	s_delay_alu instid0(VALU_DEP_1) | instskip(SKIP_1) | instid1(VALU_DEP_2)
	v_add_nc_u32_e32 v1, v5, v1
	v_add_nc_u32_e32 v5, s5, v5
	v_lshrrev_b32_e32 v1, s7, v1
	s_delay_alu instid0(VALU_DEP_2) | instskip(NEXT) | instid1(VALU_DEP_2)
	v_cmp_ge_i32_e32 vcc_lo, v5, v6
	v_lshlrev_b64 v[13:14], 2, v[1:2]
	s_or_b32 s16, vcc_lo, s16
	s_delay_alu instid0(VALU_DEP_1) | instskip(NEXT) | instid1(VALU_DEP_1)
	v_add_co_u32 v13, s2, s28, v13
	v_add_co_ci_u32_e64 v14, s2, s29, v14, s2
	s_waitcnt lgkmcnt(1)
	global_store_b32 v[13:14], v12, off
	s_and_not1_b32 exec_lo, exec_lo, s16
	s_cbranch_execnz .LBB3_56
	s_branch .LBB3_52
.LBB3_57:
	s_or_b32 exec_lo, exec_lo, s3
	s_add_i32 s2, s10, s4
	s_delay_alu instid0(SALU_CYCLE_1)
	v_dual_mov_b32 v1, s10 :: v_dual_mov_b32 v2, s2
	s_waitcnt lgkmcnt(0)
	s_waitcnt_vscnt null, 0x0
	s_barrier
	buffer_gl0_inv
	ds_load_b32 v1, v1
	s_and_not1_b32 vcc_lo, exec_lo, s22
	s_waitcnt lgkmcnt(0)
	ds_store_b32 v2, v1 offset:4
	s_cbranch_vccnz .LBB3_71
; %bb.58:
	s_add_u32 s5, s24, -4
	s_addc_u32 s6, s25, -1
	s_add_u32 s7, s18, -4
	s_addc_u32 s10, s19, -1
	s_add_u32 s12, s26, -4
	s_addc_u32 s13, s27, -1
	s_lshl_b32 s2, s36, 3
	v_and_b32_e32 v1, 8, v11
	v_add3_u32 v2, v9, s2, v10
	v_mul_lo_u32 v3, s8, v7
	v_cmp_gt_i32_e32 vcc_lo, s15, v7
	v_lshl_or_b32 v4, v0, 2, 28
	s_lshl_b32 s18, s36, 5
	v_add3_u32 v5, v2, 0, 8
	v_mov_b32_e32 v2, 0
	v_cmp_eq_u32_e64 s2, 0, v1
	s_mov_b32 s16, 0
	s_lshl_b32 s17, s8, 3
	s_add_i32 s18, s18, 32
	s_branch .LBB3_60
.LBB3_59:                               ;   in Loop: Header=BB3_60 Depth=1
	s_or_b32 exec_lo, exec_lo, s19
	v_add_nc_u32_e32 v3, s11, v3
	s_add_i32 s16, s16, s15
	s_waitcnt lgkmcnt(0)
	s_waitcnt_vscnt null, 0x0
	s_cmp_ge_i32 s16, s14
	s_barrier
	buffer_gl0_inv
	s_cbranch_scc1 .LBB3_71
.LBB3_60:                               ; =>This Loop Header: Depth=1
                                        ;     Child Loop BB3_65 Depth 2
                                        ;       Child Loop BB3_69 Depth 3
	s_and_saveexec_b32 s19, s0
	s_cbranch_execz .LBB3_59
; %bb.61:                               ;   in Loop: Header=BB3_60 Depth=1
	v_dual_mov_b32 v6, v5 :: v_dual_mov_b32 v1, v8
	s_mov_b32 s22, 0
	s_branch .LBB3_65
.LBB3_62:                               ;   in Loop: Header=BB3_65 Depth=2
	s_or_b32 exec_lo, exec_lo, s29
.LBB3_63:                               ;   in Loop: Header=BB3_65 Depth=2
	s_delay_alu instid0(SALU_CYCLE_1)
	s_or_b32 exec_lo, exec_lo, s28
	s_waitcnt lgkmcnt(0)
	ds_store_b32 v9, v10
.LBB3_64:                               ;   in Loop: Header=BB3_65 Depth=2
	s_or_b32 exec_lo, exec_lo, s23
	v_add_nc_u32_e32 v1, 32, v1
	v_add_nc_u32_e32 v6, 0x80, v6
	s_delay_alu instid0(VALU_DEP_2) | instskip(NEXT) | instid1(VALU_DEP_1)
	v_cmp_le_i32_e64 s3, s36, v1
	s_or_b32 s22, s3, s22
	s_delay_alu instid0(SALU_CYCLE_1)
	s_and_not1_b32 exec_lo, exec_lo, s22
	s_cbranch_execz .LBB3_59
.LBB3_65:                               ;   Parent Loop BB3_60 Depth=1
                                        ; =>  This Loop Header: Depth=2
                                        ;       Child Loop BB3_69 Depth 3
	s_delay_alu instid0(VALU_DEP_1) | instskip(SKIP_1) | instid1(VALU_DEP_1)
	v_lshlrev_b64 v[9:10], 2, v[1:2]
	s_mov_b32 s23, exec_lo
	v_add_co_u32 v9, s3, s20, v9
	s_delay_alu instid0(VALU_DEP_1)
	v_add_co_ci_u32_e64 v10, s3, s21, v10, s3
	global_load_b32 v9, v[9:10], off
	s_waitcnt vmcnt(0)
	v_cmpx_ne_u32_e32 0, v9
	s_cbranch_execz .LBB3_64
; %bb.66:                               ;   in Loop: Header=BB3_65 Depth=2
	v_lshl_add_u32 v9, v1, 2, 0
	ds_load_b32 v10, v9
	s_and_saveexec_b32 s28, vcc_lo
	s_cbranch_execz .LBB3_63
; %bb.67:                               ;   in Loop: Header=BB3_65 Depth=2
	v_dual_mov_b32 v11, v6 :: v_dual_mov_b32 v12, v3
	v_mov_b32_e32 v13, v7
	s_mov_b32 s29, 0
	s_branch .LBB3_69
.LBB3_68:                               ;   in Loop: Header=BB3_69 Depth=3
	s_or_b32 exec_lo, exec_lo, s4
	ds_bpermute_b32 v14, v4, v14
	v_add_nc_u32_e32 v13, 8, v13
	v_add_nc_u32_e32 v12, s17, v12
	;; [unrolled: 1-line block ×3, first 2 shown]
	s_delay_alu instid0(VALU_DEP_3) | instskip(NEXT) | instid1(VALU_DEP_1)
	v_cmp_le_i32_e64 s3, s15, v13
	s_or_b32 s29, s3, s29
	s_waitcnt lgkmcnt(0)
	v_add_nc_u32_e32 v10, v14, v10
	s_and_not1_b32 exec_lo, exec_lo, s29
	s_cbranch_execz .LBB3_62
.LBB3_69:                               ;   Parent Loop BB3_60 Depth=1
                                        ;     Parent Loop BB3_65 Depth=2
                                        ; =>    This Inner Loop Header: Depth=3
	ds_load_b32 v15, v11
	s_waitcnt lgkmcnt(0)
	v_cmp_ne_u32_e64 s3, 0, v15
	s_delay_alu instid0(VALU_DEP_1) | instskip(NEXT) | instid1(VALU_DEP_1)
	v_cndmask_b32_e64 v14, 0, 1, s3
	v_mov_b32_dpp v14, v14 row_shr:1 row_mask:0xf bank_mask:0xf bound_ctrl:1
	s_delay_alu instid0(VALU_DEP_1) | instskip(NEXT) | instid1(VALU_DEP_1)
	v_add_co_ci_u32_e64 v16, s4, 0, v14, s3
	v_mov_b32_dpp v16, v16 row_shr:2 row_mask:0xf bank_mask:0xf bound_ctrl:1
	s_delay_alu instid0(VALU_DEP_1) | instskip(NEXT) | instid1(VALU_DEP_1)
	v_add_co_ci_u32_e64 v14, s4, v16, v14, s3
	v_add_nc_u32_dpp v14, v14, v14 row_shr:4 row_mask:0xf bank_mask:0xf bound_ctrl:1
	s_delay_alu instid0(VALU_DEP_1) | instskip(NEXT) | instid1(VALU_DEP_1)
	v_add_nc_u32_dpp v14, v14, v14 row_shr:8 row_mask:0xf bank_mask:0xf bound_ctrl:1
	v_mov_b32_dpp v16, v14 row_share:7 row_mask:0xf bank_mask:0xf bound_ctrl:1
	s_delay_alu instid0(VALU_DEP_1) | instskip(NEXT) | instid1(VALU_DEP_1)
	v_cndmask_b32_e64 v16, v16, 0, s2
	v_sub_nc_u32_e32 v14, v14, v16
	s_and_saveexec_b32 s4, s3
	s_cbranch_execz .LBB3_68
; %bb.70:                               ;   in Loop: Header=BB3_69 Depth=3
	v_add_nc_u32_e32 v16, v12, v15
	v_add_nc_u32_e32 v18, s16, v13
	s_delay_alu instid0(VALU_DEP_2) | instskip(NEXT) | instid1(VALU_DEP_2)
	v_ashrrev_i32_e32 v17, 31, v16
	v_perm_b32 v18, v15, v18, 0x4020100
	s_delay_alu instid0(VALU_DEP_2) | instskip(NEXT) | instid1(VALU_DEP_2)
	v_lshlrev_b64 v[16:17], 2, v[16:17]
	v_add_nc_u32_e32 v20, 0xff000000, v18
	s_delay_alu instid0(VALU_DEP_2) | instskip(NEXT) | instid1(VALU_DEP_1)
	v_add_co_u32 v16, s3, s7, v16
	v_add_co_ci_u32_e64 v17, s3, s10, v17, s3
	global_load_b32 v19, v[16:17], off
	v_add_nc_u32_e32 v16, v14, v10
	s_delay_alu instid0(VALU_DEP_1) | instskip(NEXT) | instid1(VALU_DEP_1)
	v_ashrrev_i32_e32 v17, 31, v16
	v_lshlrev_b64 v[15:16], 2, v[16:17]
	s_delay_alu instid0(VALU_DEP_1) | instskip(NEXT) | instid1(VALU_DEP_1)
	v_add_co_u32 v17, s3, s5, v15
	v_add_co_ci_u32_e64 v18, s3, s6, v16, s3
	v_add_co_u32 v15, s3, s12, v15
	s_delay_alu instid0(VALU_DEP_1)
	v_add_co_ci_u32_e64 v16, s3, s13, v16, s3
	global_store_b32 v[17:18], v20, off
	s_waitcnt vmcnt(0)
	global_store_b32 v[15:16], v19, off
	s_branch .LBB3_68
.LBB3_71:
	s_and_saveexec_b32 s0, s1
	s_cbranch_execz .LBB3_77
; %bb.72:
	v_mov_b32_e32 v6, 0
	s_and_b32 s0, s14, 0xffffff
	s_lshl_b32 s1, s8, 24
	s_add_i32 s9, s9, 4
	s_or_b32 s1, s0, s1
	s_mov_b32 s2, 0
	s_set_inst_prefetch_distance 0x1
	s_branch .LBB3_74
	.p2align	6
.LBB3_73:                               ;   in Loop: Header=BB3_74 Depth=1
	s_or_b32 exec_lo, exec_lo, s3
	v_add_nc_u32_e32 v0, 0x100, v0
	s_delay_alu instid0(VALU_DEP_1) | instskip(SKIP_1) | instid1(SALU_CYCLE_1)
	v_cmp_le_i32_e32 vcc_lo, s36, v0
	s_or_b32 s2, vcc_lo, s2
	s_and_not1_b32 exec_lo, exec_lo, s2
	s_cbranch_execz .LBB3_77
.LBB3_74:                               ; =>This Loop Header: Depth=1
                                        ;     Child Loop BB3_76 Depth 2
	v_lshlrev_b32_e32 v1, 2, v0
	s_mov_b32 s3, exec_lo
	s_delay_alu instid0(VALU_DEP_1)
	v_add_nc_u32_e32 v2, 0, v1
	v_add_nc_u32_e32 v3, s9, v1
	ds_load_b32 v1, v2
	ds_load_b32 v7, v3
	s_waitcnt lgkmcnt(0)
	v_cmpx_lt_i32_e64 v1, v7
	s_cbranch_execz .LBB3_73
; %bb.75:                               ;   in Loop: Header=BB3_74 Depth=1
	v_ashrrev_i32_e32 v2, 31, v1
	s_mov_b32 s4, 0
	s_delay_alu instid0(VALU_DEP_1) | instskip(NEXT) | instid1(VALU_DEP_1)
	v_lshlrev_b64 v[4:5], 2, v[1:2]
	v_add_co_u32 v2, vcc_lo, s24, v4
	s_delay_alu instid0(VALU_DEP_2)
	v_add_co_ci_u32_e32 v3, vcc_lo, s25, v5, vcc_lo
	v_add_co_u32 v4, vcc_lo, s26, v4
	v_add_co_ci_u32_e32 v5, vcc_lo, s27, v5, vcc_lo
	.p2align	6
.LBB3_76:                               ;   Parent Loop BB3_74 Depth=1
                                        ; =>  This Inner Loop Header: Depth=2
	v_dual_mov_b32 v8, s1 :: v_dual_add_nc_u32 v1, 1, v1
	global_store_b32 v[4:5], v6, off
	v_add_co_u32 v4, vcc_lo, v4, 4
	v_add_co_ci_u32_e32 v5, vcc_lo, 0, v5, vcc_lo
	global_store_b32 v[2:3], v8, off
	v_cmp_ge_i32_e32 vcc_lo, v1, v7
	v_add_co_u32 v2, s0, v2, 4
	s_delay_alu instid0(VALU_DEP_1) | instskip(SKIP_1) | instid1(SALU_CYCLE_1)
	v_add_co_ci_u32_e64 v3, s0, 0, v3, s0
	s_or_b32 s4, vcc_lo, s4
	s_and_not1_b32 exec_lo, exec_lo, s4
	s_cbranch_execnz .LBB3_76
	s_branch .LBB3_73
.LBB3_77:
	s_set_inst_prefetch_distance 0x2
	s_nop 0
	s_sendmsg sendmsg(MSG_DEALLOC_VGPRS)
	s_endpgm
	.section	.rodata,"a",@progbits
	.p2align	6, 0x0
	.amdhsa_kernel _ZN5aiter22opus_moe_sorting_entryINS_16MoeSortingKernelINS_19MoeSortingProblemExIifLi2ELb1ELb1ELb1ELb1ELi0EEEEENS4_5KargsEEEvT0_
		.amdhsa_group_segment_fixed_size 0
		.amdhsa_private_segment_fixed_size 0
		.amdhsa_kernarg_size 400
		.amdhsa_user_sgpr_count 15
		.amdhsa_user_sgpr_dispatch_ptr 0
		.amdhsa_user_sgpr_queue_ptr 0
		.amdhsa_user_sgpr_kernarg_segment_ptr 1
		.amdhsa_user_sgpr_dispatch_id 0
		.amdhsa_user_sgpr_private_segment_size 0
		.amdhsa_wavefront_size32 1
		.amdhsa_uses_dynamic_stack 0
		.amdhsa_enable_private_segment 0
		.amdhsa_system_sgpr_workgroup_id_x 1
		.amdhsa_system_sgpr_workgroup_id_y 0
		.amdhsa_system_sgpr_workgroup_id_z 0
		.amdhsa_system_sgpr_workgroup_info 0
		.amdhsa_system_vgpr_workitem_id 0
		.amdhsa_next_free_vgpr 21
		.amdhsa_next_free_sgpr 44
		.amdhsa_reserve_vcc 1
		.amdhsa_float_round_mode_32 0
		.amdhsa_float_round_mode_16_64 0
		.amdhsa_float_denorm_mode_32 3
		.amdhsa_float_denorm_mode_16_64 3
		.amdhsa_dx10_clamp 1
		.amdhsa_ieee_mode 1
		.amdhsa_fp16_overflow 0
		.amdhsa_workgroup_processor_mode 1
		.amdhsa_memory_ordered 1
		.amdhsa_forward_progress 0
		.amdhsa_shared_vgpr_count 0
		.amdhsa_exception_fp_ieee_invalid_op 0
		.amdhsa_exception_fp_denorm_src 0
		.amdhsa_exception_fp_ieee_div_zero 0
		.amdhsa_exception_fp_ieee_overflow 0
		.amdhsa_exception_fp_ieee_underflow 0
		.amdhsa_exception_fp_ieee_inexact 0
		.amdhsa_exception_int_div_zero 0
	.end_amdhsa_kernel
	.section	.text._ZN5aiter22opus_moe_sorting_entryINS_16MoeSortingKernelINS_19MoeSortingProblemExIifLi2ELb1ELb1ELb1ELb1ELi0EEEEENS4_5KargsEEEvT0_,"axG",@progbits,_ZN5aiter22opus_moe_sorting_entryINS_16MoeSortingKernelINS_19MoeSortingProblemExIifLi2ELb1ELb1ELb1ELb1ELi0EEEEENS4_5KargsEEEvT0_,comdat
.Lfunc_end3:
	.size	_ZN5aiter22opus_moe_sorting_entryINS_16MoeSortingKernelINS_19MoeSortingProblemExIifLi2ELb1ELb1ELb1ELb1ELi0EEEEENS4_5KargsEEEvT0_, .Lfunc_end3-_ZN5aiter22opus_moe_sorting_entryINS_16MoeSortingKernelINS_19MoeSortingProblemExIifLi2ELb1ELb1ELb1ELb1ELi0EEEEENS4_5KargsEEEvT0_
                                        ; -- End function
	.section	.AMDGPU.csdata,"",@progbits
; Kernel info:
; codeLenInByte = 3612
; NumSgprs: 46
; NumVgprs: 21
; ScratchSize: 0
; MemoryBound: 0
; FloatMode: 240
; IeeeMode: 1
; LDSByteSize: 0 bytes/workgroup (compile time only)
; SGPRBlocks: 5
; VGPRBlocks: 2
; NumSGPRsForWavesPerEU: 46
; NumVGPRsForWavesPerEU: 21
; Occupancy: 16
; WaveLimiterHint : 1
; COMPUTE_PGM_RSRC2:SCRATCH_EN: 0
; COMPUTE_PGM_RSRC2:USER_SGPR: 15
; COMPUTE_PGM_RSRC2:TRAP_HANDLER: 0
; COMPUTE_PGM_RSRC2:TGID_X_EN: 1
; COMPUTE_PGM_RSRC2:TGID_Y_EN: 0
; COMPUTE_PGM_RSRC2:TGID_Z_EN: 0
; COMPUTE_PGM_RSRC2:TIDIG_COMP_CNT: 0
	.section	.text._ZN5aiter22opus_moe_sorting_entryINS_16MoeSortingKernelINS_19MoeSortingProblemExIifLi1ELb1ELb1ELb1ELb1ELi0EEEEENS4_5KargsEEEvT0_,"axG",@progbits,_ZN5aiter22opus_moe_sorting_entryINS_16MoeSortingKernelINS_19MoeSortingProblemExIifLi1ELb1ELb1ELb1ELb1ELi0EEEEENS4_5KargsEEEvT0_,comdat
	.protected	_ZN5aiter22opus_moe_sorting_entryINS_16MoeSortingKernelINS_19MoeSortingProblemExIifLi1ELb1ELb1ELb1ELb1ELi0EEEEENS4_5KargsEEEvT0_ ; -- Begin function _ZN5aiter22opus_moe_sorting_entryINS_16MoeSortingKernelINS_19MoeSortingProblemExIifLi1ELb1ELb1ELb1ELb1ELi0EEEEENS4_5KargsEEEvT0_
	.globl	_ZN5aiter22opus_moe_sorting_entryINS_16MoeSortingKernelINS_19MoeSortingProblemExIifLi1ELb1ELb1ELb1ELb1ELi0EEEEENS4_5KargsEEEvT0_
	.p2align	8
	.type	_ZN5aiter22opus_moe_sorting_entryINS_16MoeSortingKernelINS_19MoeSortingProblemExIifLi1ELb1ELb1ELb1ELb1ELi0EEEEENS4_5KargsEEEvT0_,@function
_ZN5aiter22opus_moe_sorting_entryINS_16MoeSortingKernelINS_19MoeSortingProblemExIifLi1ELb1ELb1ELb1ELb1ELi0EEEEENS4_5KargsEEEvT0_: ; @_ZN5aiter22opus_moe_sorting_entryINS_16MoeSortingKernelINS_19MoeSortingProblemExIifLi1ELb1ELb1ELb1ELb1ELi0EEEEENS4_5KargsEEEvT0_
; %bb.0:
	s_clause 0x2
	s_load_b512 s[16:31], s[0:1], 0x0
	s_load_b128 s[40:43], s[0:1], 0x40
	s_load_b128 s[36:39], s[0:1], 0x54
	s_cmp_eq_u32 s15, 0
	s_waitcnt lgkmcnt(0)
	s_load_b32 s14, s[22:23], 0x0
	s_cbranch_scc1 .LBB4_7
; %bb.1:
	s_cmp_eq_u64 s[40:41], 0
	s_cbranch_scc1 .LBB4_6
; %bb.2:
	s_waitcnt lgkmcnt(0)
	s_ashr_i32 s2, s14, 31
	s_mul_i32 s3, s38, s37
	s_mul_hi_i32 s5, s38, s37
	s_mul_i32 s2, s3, s2
	s_mul_hi_u32 s4, s3, s14
	s_mul_i32 s5, s5, s14
	s_add_i32 s2, s4, s2
	s_mul_i32 s3, s3, s14
	s_add_i32 s4, s2, s5
	v_mov_b32_e32 v2, 0
	s_ashr_i32 s2, s4, 31
	s_mov_b32 s7, 0
	s_lshr_b32 s2, s2, 28
	s_delay_alu instid0(SALU_CYCLE_1) | instskip(SKIP_2) | instid1(SALU_CYCLE_1)
	s_add_u32 s2, s3, s2
	s_addc_u32 s3, s4, 0
	s_lshl_b32 s4, s15, 8
	v_add3_u32 v1, v0, s4, 0xffffff00
	s_ashr_i64 s[4:5], s[2:3], 4
	s_mov_b32 s3, exec_lo
	s_delay_alu instid0(VALU_DEP_1)
	v_cmpx_gt_i64_e64 s[4:5], v[1:2]
	s_cbranch_execz .LBB4_5
; %bb.3:
	s_load_b32 s2, s[0:1], 0x90
	v_lshlrev_b64 v[3:4], 4, v[1:2]
	v_dual_mov_b32 v6, v2 :: v_dual_mov_b32 v5, v1
	v_mov_b32_e32 v1, v2
	s_delay_alu instid0(VALU_DEP_3) | instskip(NEXT) | instid1(VALU_DEP_4)
	v_add_co_u32 v7, vcc_lo, s40, v3
	v_add_co_ci_u32_e32 v8, vcc_lo, s41, v4, vcc_lo
	v_mov_b32_e32 v3, v2
	v_mov_b32_e32 v4, v2
	s_waitcnt lgkmcnt(0)
	s_lshl_b32 s2, s2, 8
	s_delay_alu instid0(SALU_CYCLE_1) | instskip(NEXT) | instid1(SALU_CYCLE_1)
	s_add_i32 s6, s2, 0xffffff00
	s_lshl_b64 s[8:9], s[6:7], 4
.LBB4_4:                                ; =>This Inner Loop Header: Depth=1
	v_add_co_u32 v5, vcc_lo, v5, s6
	v_add_co_ci_u32_e32 v6, vcc_lo, 0, v6, vcc_lo
	global_store_b128 v[7:8], v[1:4], off
	v_add_co_u32 v7, s2, v7, s8
	v_cmp_le_i64_e32 vcc_lo, s[4:5], v[5:6]
	v_add_co_ci_u32_e64 v8, s2, s9, v8, s2
	s_or_b32 s7, vcc_lo, s7
	s_delay_alu instid0(SALU_CYCLE_1)
	s_and_not1_b32 exec_lo, exec_lo, s7
	s_cbranch_execnz .LBB4_4
.LBB4_5:
	s_or_b32 exec_lo, exec_lo, s3
.LBB4_6:
	s_cbranch_execz .LBB4_8
	s_branch .LBB4_77
.LBB4_7:
.LBB4_8:
	s_clause 0x1
	s_load_b256 s[4:11], s[0:1], 0x64
	s_load_b64 s[0:1], s[0:1], 0x84
	v_lshrrev_b32_e32 v1, 5, v0
	s_add_i32 s33, s36, 1
	s_mov_b32 s34, exec_lo
	s_delay_alu instid0(VALU_DEP_1) | instskip(SKIP_2) | instid1(SALU_CYCLE_1)
	v_readfirstlane_b32 s23, v1
	s_waitcnt lgkmcnt(0)
	s_add_i32 s15, s4, -2
	s_mul_i32 s22, s15, s36
	s_delay_alu instid0(SALU_CYCLE_1)
	v_cmpx_gt_i32_e64 s22, v0
	s_cbranch_execz .LBB4_11
; %bb.9:
	v_dual_mov_b32 v4, 0 :: v_dual_lshlrev_b32 v3, 2, v0
	s_lshl_b32 s2, s36, 3
	v_mad_u64_u32 v[1:2], null, v0, s0, 0
	s_add_i32 s2, s2, 0
	v_mov_b32_e32 v5, v0
	v_add3_u32 v3, s2, v3, 8
	s_mov_b32 s3, 0
	s_sub_i32 s11, s33, s11
	s_mov_b32 s2, s0
	s_lshl_b32 s11, s11, 2
	s_lshl_b64 s[12:13], s[2:3], 8
	.p2align	6
.LBB4_10:                               ; =>This Inner Loop Header: Depth=1
	v_add_nc_u32_e32 v6, v5, v2
	v_add_nc_u32_e32 v5, 0x100, v5
	v_add_co_u32 v1, vcc_lo, v1, s12
	v_add_co_ci_u32_e32 v2, vcc_lo, s13, v2, vcc_lo
	s_delay_alu instid0(VALU_DEP_4) | instskip(NEXT) | instid1(VALU_DEP_4)
	v_lshrrev_b32_e32 v8, s1, v6
	v_cmp_le_i32_e64 s0, s22, v5
	s_delay_alu instid0(VALU_DEP_2) | instskip(SKIP_1) | instid1(VALU_DEP_3)
	v_mad_u64_u32 v[6:7], null, s11, v8, v[3:4]
	v_add_nc_u32_e32 v3, 0x400, v3
	s_or_b32 s3, s0, s3
	ds_store_b32 v6, v4
	s_and_not1_b32 exec_lo, exec_lo, s3
	s_cbranch_execnz .LBB4_10
.LBB4_11:
	s_or_b32 exec_lo, exec_lo, s34
	s_cmp_gt_i32 s14, 0
	s_mov_b32 s3, 0
	s_cselect_b32 s22, -1, 0
	s_cmp_lt_i32 s14, 1
	s_mul_i32 s11, s8, s15
	s_waitcnt lgkmcnt(0)
	s_waitcnt_vscnt null, 0x0
	s_barrier
	buffer_gl0_inv
	s_cbranch_scc1 .LBB4_19
; %bb.12:
	v_mad_u64_u32 v[1:2], null, v0, s9, 0
	v_cmp_gt_i32_e32 vcc_lo, s11, v0
	v_mov_b32_e32 v4, 0
	s_lshl_b32 s0, s33, 3
	s_mov_b32 s2, s9
	s_add_i32 s34, s0, 0
	s_sub_i32 s9, 0, s8
	s_lshl_b64 s[12:13], s[2:3], 8
	s_mov_b32 s2, 0
	s_branch .LBB4_14
.LBB4_13:                               ;   in Loop: Header=BB4_14 Depth=1
	s_set_inst_prefetch_distance 0x2
	s_or_b32 exec_lo, exec_lo, s35
	s_add_i32 s2, s2, s15
	s_add_i32 s3, s3, s11
	s_cmp_ge_i32 s2, s14
	s_waitcnt lgkmcnt(0)
	s_barrier
	buffer_gl0_inv
	s_cbranch_scc1 .LBB4_19
.LBB4_14:                               ; =>This Loop Header: Depth=1
                                        ;     Child Loop BB4_17 Depth 2
	s_and_saveexec_b32 s35, vcc_lo
	s_cbranch_execz .LBB4_13
; %bb.15:                               ;   in Loop: Header=BB4_14 Depth=1
	v_dual_mov_b32 v6, v2 :: v_dual_mov_b32 v5, v1
	v_mov_b32_e32 v7, v0
	s_mov_b32 s37, 0
	s_set_inst_prefetch_distance 0x1
	s_branch .LBB4_17
	.p2align	6
.LBB4_16:                               ;   in Loop: Header=BB4_17 Depth=2
	s_or_b32 exec_lo, exec_lo, s1
	v_add_nc_u32_e32 v7, 0x100, v7
	v_add_co_u32 v5, s1, v5, s12
	s_delay_alu instid0(VALU_DEP_1) | instskip(NEXT) | instid1(VALU_DEP_3)
	v_add_co_ci_u32_e64 v6, s1, s13, v6, s1
	v_cmp_le_i32_e64 s0, s11, v7
	s_waitcnt vmcnt(48) lgkmcnt(7)
	s_delay_alu instid0(VALU_DEP_1) | instskip(NEXT) | instid1(SALU_CYCLE_1)
	s_or_b32 s37, s0, s37
	s_and_not1_b32 exec_lo, exec_lo, s37
	s_cbranch_execz .LBB4_13
.LBB4_17:                               ;   Parent Loop BB4_14 Depth=1
                                        ; =>  This Inner Loop Header: Depth=2
	s_delay_alu instid0(VALU_DEP_1) | instskip(SKIP_1) | instid1(VALU_DEP_1)
	v_add_nc_u32_e32 v3, v7, v6
	s_mov_b32 s1, exec_lo
	v_lshrrev_b32_e32 v8, s10, v3
	s_delay_alu instid0(VALU_DEP_1) | instskip(NEXT) | instid1(VALU_DEP_1)
	v_add_nc_u32_e32 v3, s2, v8
	v_cmpx_gt_i32_e64 s14, v3
	s_cbranch_execz .LBB4_16
; %bb.18:                               ;   in Loop: Header=BB4_17 Depth=2
	v_add_nc_u32_e32 v3, s3, v7
	s_delay_alu instid0(VALU_DEP_1) | instskip(NEXT) | instid1(VALU_DEP_1)
	v_lshlrev_b64 v[9:10], 2, v[3:4]
	v_add_co_u32 v9, s0, s16, v9
	s_delay_alu instid0(VALU_DEP_1) | instskip(SKIP_3) | instid1(VALU_DEP_2)
	v_add_co_ci_u32_e64 v10, s0, s17, v10, s0
	global_load_b32 v3, v[9:10], off
	v_mul_lo_u32 v9, v8, s33
	v_mul_lo_u32 v8, s9, v8
	v_lshlrev_b32_e32 v9, 2, v9
	s_delay_alu instid0(VALU_DEP_2) | instskip(SKIP_2) | instid1(VALU_DEP_1)
	v_add3_u32 v8, v7, v8, 1
	s_waitcnt vmcnt(0)
	v_lshlrev_b32_e32 v3, 2, v3
	v_add3_u32 v3, s34, v3, v9
	ds_store_b32 v3, v8
	s_branch .LBB4_16
.LBB4_19:
	s_mov_b32 s0, exec_lo
	v_cmpx_eq_u32_e32 0, v0
	s_cbranch_execz .LBB4_21
; %bb.20:
	v_mov_b32_e32 v1, 0
	ds_store_b32 v1, v1
.LBB4_21:
	s_or_b32 exec_lo, exec_lo, s0
	v_and_b32_e32 v7, 7, v0
	v_lshrrev_b32_e32 v8, 3, v0
	v_mbcnt_lo_u32_b32 v11, -1, 0
	s_mov_b32 s9, 0
	s_delay_alu instid0(VALU_DEP_3) | instskip(NEXT) | instid1(VALU_DEP_3)
	v_mul_lo_u32 v1, s33, v7
	v_cmp_gt_i32_e64 s0, s36, v8
	v_lshlrev_b32_e32 v10, 2, v8
	s_delay_alu instid0(VALU_DEP_3) | instskip(NEXT) | instid1(VALU_DEP_3)
	v_lshlrev_b32_e32 v9, 2, v1
	s_and_saveexec_b32 s3, s0
	s_cbranch_execz .LBB4_29
; %bb.22:
	s_cmp_gt_i32 s4, 2
	v_lshlrev_b32_e32 v3, 2, v11
	s_cselect_b32 s4, -1, 0
	s_lshl_b32 s1, s36, 3
	v_mov_b32_e32 v5, v8
	v_add3_u32 v4, v9, s1, v10
	v_cmp_eq_u32_e64 s1, 0, v7
	v_xor_b32_e32 v1, 4, v3
	v_xor_b32_e32 v2, 8, v3
	;; [unrolled: 1-line block ×3, first 2 shown]
	v_add3_u32 v4, v4, 0, 8
	s_lshl_b32 s10, s36, 5
	s_delay_alu instid0(SALU_CYCLE_1)
	s_add_i32 s10, s10, 32
	s_set_inst_prefetch_distance 0x1
	s_branch .LBB4_24
	.p2align	6
.LBB4_23:                               ;   in Loop: Header=BB4_24 Depth=1
	s_or_b32 exec_lo, exec_lo, s2
	v_add_nc_u32_e32 v5, 32, v5
	v_add_nc_u32_e32 v4, 0x80, v4
	s_delay_alu instid0(VALU_DEP_2) | instskip(SKIP_1) | instid1(SALU_CYCLE_1)
	v_cmp_le_i32_e32 vcc_lo, s36, v5
	s_or_b32 s9, vcc_lo, s9
	s_and_not1_b32 exec_lo, exec_lo, s9
	s_cbranch_execz .LBB4_29
.LBB4_24:                               ; =>This Loop Header: Depth=1
                                        ;     Child Loop BB4_26 Depth 2
	v_mov_b32_e32 v6, 0
	s_and_not1_b32 vcc_lo, exec_lo, s4
	s_cbranch_vccnz .LBB4_27
; %bb.25:                               ;   in Loop: Header=BB4_24 Depth=1
	v_mov_b32_e32 v6, 0
	v_mov_b32_e32 v12, v4
	s_mov_b32 s12, 0
	.p2align	6
.LBB4_26:                               ;   Parent Loop BB4_24 Depth=1
                                        ; =>  This Inner Loop Header: Depth=2
	ds_load_b32 v13, v12
	v_add_nc_u32_e32 v12, s10, v12
	s_add_i32 s12, s12, 8
	s_delay_alu instid0(SALU_CYCLE_1)
	s_cmp_ge_i32 s12, s15
	s_waitcnt lgkmcnt(0)
	v_cmp_ne_u32_e32 vcc_lo, 0, v13
	v_cndmask_b32_e64 v13, 0, 1, vcc_lo
	ds_bpermute_b32 v13, v1, v13
	s_waitcnt lgkmcnt(0)
	v_add_co_ci_u32_e64 v14, s2, 0, v13, vcc_lo
	ds_bpermute_b32 v14, v2, v14
	s_waitcnt lgkmcnt(0)
	v_add_co_ci_u32_e32 v13, vcc_lo, v14, v13, vcc_lo
	ds_bpermute_b32 v14, v3, v13
	s_waitcnt lgkmcnt(0)
	v_add3_u32 v6, v14, v6, v13
	s_cbranch_scc0 .LBB4_26
.LBB4_27:                               ;   in Loop: Header=BB4_24 Depth=1
	s_and_saveexec_b32 s2, s1
	s_cbranch_execz .LBB4_23
; %bb.28:                               ;   in Loop: Header=BB4_24 Depth=1
	v_lshl_add_u32 v12, v5, 2, 0
	ds_store_b32 v12, v6 offset:4
	s_branch .LBB4_23
.LBB4_29:
	s_set_inst_prefetch_distance 0x2
	s_or_b32 exec_lo, exec_lo, s3
	s_lshl_b32 s4, s36, 2
	v_cmp_gt_i32_e64 s1, s36, v0
	s_add_i32 s10, s4, 0
	s_delay_alu instid0(SALU_CYCLE_1)
	v_dual_mov_b32 v1, 0 :: v_dual_mov_b32 v2, s10
	s_mov_b32 s3, 0
	ds_store_b32 v2, v1 offset:4
	s_and_saveexec_b32 s9, s1
	s_cbranch_execz .LBB4_32
; %bb.30:
	v_dual_mov_b32 v4, v0 :: v_dual_lshlrev_b32 v1, 2, v0
	s_delay_alu instid0(VALU_DEP_1) | instskip(SKIP_1) | instid1(VALU_DEP_1)
	v_add3_u32 v3, s10, v1, 8
	v_add_co_u32 v1, s2, s20, v1
	v_add_co_ci_u32_e64 v2, null, s21, 0, s2
	.p2align	6
.LBB4_31:                               ; =>This Inner Loop Header: Depth=1
	global_load_b32 v5, v[1:2], off
	v_add_nc_u32_e32 v4, 0x100, v4
	v_add_co_u32 v1, vcc_lo, 0x400, v1
	v_add_co_ci_u32_e32 v2, vcc_lo, 0, v2, vcc_lo
	s_delay_alu instid0(VALU_DEP_3) | instskip(NEXT) | instid1(VALU_DEP_1)
	v_cmp_le_i32_e64 s2, s36, v4
	s_or_b32 s3, s2, s3
	s_waitcnt vmcnt(0)
	ds_store_b32 v3, v5
	v_add_nc_u32_e32 v3, 0x400, v3
	s_and_not1_b32 exec_lo, exec_lo, s3
	s_cbranch_execnz .LBB4_31
.LBB4_32:
	s_or_b32 exec_lo, exec_lo, s9
	s_add_i32 s9, s10, 4
	s_cmp_lg_u32 s23, 0
	s_mov_b32 s12, 0
	s_waitcnt lgkmcnt(0)
	s_barrier
	buffer_gl0_inv
	s_cbranch_scc1 .LBB4_43
; %bb.33:
	v_mov_b32_e32 v1, 0
	s_cmp_lt_i32 s36, 1
	s_cbranch_scc1 .LBB4_40
; %bb.34:
	v_lshlrev_b32_e32 v1, 2, v11
	v_cmp_eq_u32_e32 vcc_lo, 0, v11
	v_cmp_lt_u32_e64 s2, 15, v11
	s_add_i32 s13, s5, -1
	s_delay_alu instid0(VALU_DEP_3) | instskip(SKIP_1) | instid1(VALU_DEP_2)
	v_and_b32_e32 v2, 64, v1
	v_add_nc_u32_e32 v3, 0, v1
	v_add_nc_u32_e32 v2, -4, v2
	s_branch .LBB4_36
.LBB4_35:                               ;   in Loop: Header=BB4_36 Depth=1
	s_or_b32 exec_lo, exec_lo, s23
	v_add_nc_u32_e32 v3, 0x80, v3
	s_add_i32 s12, s12, 32
	s_waitcnt vmcnt(48) lgkmcnt(7)
	s_cmp_lt_i32 s12, s36
	s_cbranch_scc0 .LBB4_40
.LBB4_36:                               ; =>This Inner Loop Header: Depth=1
	ds_load_b32 v1, v3 offset:4
	v_add_nc_u32_e32 v4, s4, v3
	s_waitcnt lgkmcnt(1)
	v_cndmask_b32_e64 v6, 0, s12, vcc_lo
	ds_load_b32 v5, v4 offset:8
	v_lshlrev_b32_e32 v6, 2, v6
	s_delay_alu instid0(VALU_DEP_1) | instskip(SKIP_4) | instid1(VALU_DEP_1)
	v_add_nc_u32_e32 v13, 0, v6
	v_add_nc_u32_e32 v6, s9, v6
	ds_load_b32 v6, v6
	s_waitcnt lgkmcnt(2)
	v_add_nc_u32_e32 v1, s13, v1
	v_mul_hi_u32 v12, v1, s6
	s_waitcnt lgkmcnt(1)
	v_cmp_ne_u32_e64 s3, 0, v5
	s_delay_alu instid0(VALU_DEP_2) | instskip(SKIP_3) | instid1(VALU_DEP_1)
	v_add_nc_u32_e32 v1, v1, v12
	ds_load_b32 v12, v13
	v_add_nc_u32_e32 v13, s12, v11
	v_lshrrev_b32_e32 v1, s7, v1
	v_mul_lo_u32 v1, v1, s5
	s_delay_alu instid0(VALU_DEP_1) | instskip(NEXT) | instid1(VALU_DEP_4)
	v_cndmask_b32_e64 v1, 0, v1, s3
	v_cmp_gt_i32_e64 s3, s36, v13
	s_waitcnt lgkmcnt(0)
	s_delay_alu instid0(VALU_DEP_2) | instskip(NEXT) | instid1(VALU_DEP_1)
	v_add_nc_u32_e32 v1, v1, v12
	v_add_nc_u32_dpp v1, v1, v1 row_shr:1 row_mask:0xf bank_mask:0xf bound_ctrl:1
	s_delay_alu instid0(VALU_DEP_1) | instskip(NEXT) | instid1(VALU_DEP_1)
	v_add_nc_u32_dpp v1, v1, v1 row_shr:2 row_mask:0xf bank_mask:0xf bound_ctrl:1
	v_add_nc_u32_dpp v1, v1, v1 row_shr:4 row_mask:0xf bank_mask:0xf bound_ctrl:1
	s_delay_alu instid0(VALU_DEP_1) | instskip(SKIP_3) | instid1(VALU_DEP_1)
	v_add_nc_u32_dpp v1, v1, v1 row_shr:8 row_mask:0xf bank_mask:0xf bound_ctrl:1
	ds_bpermute_b32 v12, v2, v1
	s_waitcnt lgkmcnt(0)
	v_cndmask_b32_e64 v12, 0, v12, s2
	v_add_nc_u32_e32 v1, v1, v12
	s_and_saveexec_b32 s23, s3
	s_cbranch_execz .LBB4_38
; %bb.37:                               ;   in Loop: Header=BB4_36 Depth=1
	ds_store_b32 v3, v1 offset:4
.LBB4_38:                               ;   in Loop: Header=BB4_36 Depth=1
	s_or_b32 exec_lo, exec_lo, s23
	v_add_nc_u32_e32 v5, v5, v6
	s_delay_alu instid0(VALU_DEP_1) | instskip(NEXT) | instid1(VALU_DEP_1)
	v_add_nc_u32_dpp v5, v5, v5 row_shr:1 row_mask:0xf bank_mask:0xf bound_ctrl:1
	v_add_nc_u32_dpp v5, v5, v5 row_shr:2 row_mask:0xf bank_mask:0xf bound_ctrl:1
	s_delay_alu instid0(VALU_DEP_1) | instskip(NEXT) | instid1(VALU_DEP_1)
	v_add_nc_u32_dpp v5, v5, v5 row_shr:4 row_mask:0xf bank_mask:0xf bound_ctrl:1
	v_add_nc_u32_dpp v5, v5, v5 row_shr:8 row_mask:0xf bank_mask:0xf bound_ctrl:1
	ds_bpermute_b32 v6, v2, v5
	s_and_saveexec_b32 s23, s3
	s_cbranch_execz .LBB4_35
; %bb.39:                               ;   in Loop: Header=BB4_36 Depth=1
	s_waitcnt lgkmcnt(0)
	v_cndmask_b32_e64 v6, 0, v6, s2
	s_delay_alu instid0(VALU_DEP_1)
	v_add_nc_u32_e32 v5, v6, v5
	ds_store_b32 v4, v5 offset:8
	s_branch .LBB4_35
.LBB4_40:
	v_add3_u32 v2, v11, s12, 0xffffffe1
	s_mov_b32 s2, exec_lo
	s_delay_alu instid0(VALU_DEP_1)
	v_cmpx_eq_u32_e64 s36, v2
	s_cbranch_execz .LBB4_42
; %bb.41:
	v_dual_mov_b32 v3, 0 :: v_dual_mov_b32 v2, s14
	global_store_b64 v3, v[1:2], s[30:31]
.LBB4_42:
	s_or_b32 exec_lo, exec_lo, s2
.LBB4_43:
	s_cmp_eq_u64 s[42:43], 0
	s_waitcnt lgkmcnt(0)
	s_waitcnt_vscnt null, 0x0
	s_barrier
	buffer_gl0_inv
	s_cbranch_scc1 .LBB4_50
; %bb.44:
	s_mul_i32 s3, s14, s8
	s_mov_b32 s12, exec_lo
	v_cmpx_gt_i32_e64 s3, v0
	s_cbranch_execz .LBB4_49
; %bb.45:
	v_dual_mov_b32 v12, v0 :: v_dual_lshlrev_b32 v3, 2, v0
	s_mov_b32 s13, 0
	s_delay_alu instid0(VALU_DEP_1) | instskip(NEXT) | instid1(VALU_DEP_1)
	v_add_co_u32 v1, s2, s16, v3
	v_add_co_ci_u32_e64 v2, null, s17, 0, s2
	v_add_co_u32 v3, s2, s42, v3
	s_delay_alu instid0(VALU_DEP_1)
	v_add_co_ci_u32_e64 v4, null, s43, 0, s2
	s_set_inst_prefetch_distance 0x1
	s_branch .LBB4_47
	.p2align	6
.LBB4_46:                               ;   in Loop: Header=BB4_47 Depth=1
	s_or_b32 exec_lo, exec_lo, s2
	v_add_nc_u32_e32 v12, 0x100, v12
	v_add_co_u32 v1, vcc_lo, 0x400, v1
	v_add_co_ci_u32_e32 v2, vcc_lo, 0, v2, vcc_lo
	s_waitcnt lgkmcnt(0)
	global_store_b32 v[3:4], v6, off
	v_cmp_le_i32_e32 vcc_lo, s3, v12
	v_add_co_u32 v3, s2, 0x400, v3
	s_delay_alu instid0(VALU_DEP_1) | instskip(SKIP_1) | instid1(SALU_CYCLE_1)
	v_add_co_ci_u32_e64 v4, s2, 0, v4, s2
	s_or_b32 s13, vcc_lo, s13
	s_and_not1_b32 exec_lo, exec_lo, s13
	s_cbranch_execz .LBB4_49
.LBB4_47:                               ; =>This Inner Loop Header: Depth=1
	global_load_b32 v5, v[1:2], off
	s_waitcnt vmcnt(0)
	v_ashrrev_i32_e32 v6, 31, v5
	s_delay_alu instid0(VALU_DEP_1) | instskip(NEXT) | instid1(VALU_DEP_1)
	v_lshlrev_b64 v[13:14], 2, v[5:6]
	v_add_co_u32 v13, vcc_lo, s20, v13
	s_delay_alu instid0(VALU_DEP_2)
	v_add_co_ci_u32_e32 v14, vcc_lo, s21, v14, vcc_lo
	global_load_b32 v6, v[13:14], off
	s_waitcnt vmcnt(0)
	v_cmp_ne_u32_e32 vcc_lo, 0, v6
	v_mov_b32_e32 v6, -1
	s_and_saveexec_b32 s2, vcc_lo
	s_cbranch_execz .LBB4_46
; %bb.48:                               ;   in Loop: Header=BB4_47 Depth=1
	v_lshl_add_u32 v5, v5, 2, s9
	ds_load_b32 v6, v5
	s_branch .LBB4_46
.LBB4_49:
	s_set_inst_prefetch_distance 0x2
	s_or_b32 exec_lo, exec_lo, s12
	s_waitcnt_vscnt null, 0x0
	s_barrier
	buffer_gl0_inv
.LBB4_50:
	s_and_saveexec_b32 s3, s1
	s_cbranch_execz .LBB4_57
; %bb.51:
	v_dual_mov_b32 v2, 0 :: v_dual_mov_b32 v3, v0
	s_mov_b32 s12, 0
	s_branch .LBB4_53
.LBB4_52:                               ;   in Loop: Header=BB4_53 Depth=1
	s_or_b32 exec_lo, exec_lo, s13
	v_add_nc_u32_e32 v3, 0x100, v3
	s_delay_alu instid0(VALU_DEP_1) | instskip(SKIP_1) | instid1(SALU_CYCLE_1)
	v_cmp_le_i32_e32 vcc_lo, s36, v3
	s_or_b32 s12, vcc_lo, s12
	s_and_not1_b32 exec_lo, exec_lo, s12
	s_cbranch_execz .LBB4_57
.LBB4_53:                               ; =>This Loop Header: Depth=1
                                        ;     Child Loop BB4_56 Depth 2
	s_delay_alu instid0(VALU_DEP_1) | instskip(SKIP_1) | instid1(VALU_DEP_1)
	v_lshlrev_b32_e32 v1, 2, v3
	s_mov_b32 s13, exec_lo
	v_add_nc_u32_e32 v4, 0, v1
	v_add_nc_u32_e32 v1, s9, v1
	ds_load_2addr_b32 v[5:6], v4 offset1:1
	s_waitcnt lgkmcnt(2)
	ds_load_b32 v12, v1
	s_waitcnt lgkmcnt(1)
	ds_store_b32 v1, v5
	v_cmpx_ne_u32_e64 v5, v6
	s_cbranch_execz .LBB4_52
; %bb.54:                               ;   in Loop: Header=BB4_53 Depth=1
	v_mov_b32_e32 v4, v2
	v_cmp_lt_i32_e64 s2, v5, v6
	s_delay_alu instid0(VALU_DEP_2) | instskip(NEXT) | instid1(VALU_DEP_1)
	v_lshlrev_b64 v[13:14], 2, v[3:4]
	v_add_co_u32 v13, vcc_lo, s20, v13
	s_delay_alu instid0(VALU_DEP_2) | instskip(SKIP_4) | instid1(SALU_CYCLE_1)
	v_add_co_ci_u32_e32 v14, vcc_lo, s21, v14, vcc_lo
	global_load_b32 v1, v[13:14], off
	s_waitcnt vmcnt(0)
	v_cmp_ne_u32_e32 vcc_lo, 0, v1
	s_and_b32 s2, s2, vcc_lo
	s_and_b32 exec_lo, exec_lo, s2
	s_cbranch_execz .LBB4_52
; %bb.55:                               ;   in Loop: Header=BB4_53 Depth=1
	s_mov_b32 s16, 0
	.p2align	6
.LBB4_56:                               ;   Parent Loop BB4_53 Depth=1
                                        ; =>  This Inner Loop Header: Depth=2
	v_mul_hi_u32 v1, s6, v5
	s_delay_alu instid0(VALU_DEP_1) | instskip(SKIP_1) | instid1(VALU_DEP_2)
	v_add_nc_u32_e32 v1, v5, v1
	v_add_nc_u32_e32 v5, s5, v5
	v_lshrrev_b32_e32 v1, s7, v1
	s_delay_alu instid0(VALU_DEP_2) | instskip(NEXT) | instid1(VALU_DEP_2)
	v_cmp_ge_i32_e32 vcc_lo, v5, v6
	v_lshlrev_b64 v[13:14], 2, v[1:2]
	s_or_b32 s16, vcc_lo, s16
	s_delay_alu instid0(VALU_DEP_1) | instskip(NEXT) | instid1(VALU_DEP_1)
	v_add_co_u32 v13, s2, s28, v13
	v_add_co_ci_u32_e64 v14, s2, s29, v14, s2
	s_waitcnt lgkmcnt(1)
	global_store_b32 v[13:14], v12, off
	s_and_not1_b32 exec_lo, exec_lo, s16
	s_cbranch_execnz .LBB4_56
	s_branch .LBB4_52
.LBB4_57:
	s_or_b32 exec_lo, exec_lo, s3
	s_add_i32 s2, s10, s4
	s_delay_alu instid0(SALU_CYCLE_1)
	v_dual_mov_b32 v1, s10 :: v_dual_mov_b32 v2, s2
	s_waitcnt lgkmcnt(0)
	s_waitcnt_vscnt null, 0x0
	s_barrier
	buffer_gl0_inv
	ds_load_b32 v1, v1
	s_and_not1_b32 vcc_lo, exec_lo, s22
	s_waitcnt lgkmcnt(0)
	ds_store_b32 v2, v1 offset:4
	s_cbranch_vccnz .LBB4_71
; %bb.58:
	s_add_u32 s5, s24, -4
	s_addc_u32 s6, s25, -1
	s_add_u32 s7, s18, -4
	s_addc_u32 s10, s19, -1
	;; [unrolled: 2-line block ×3, first 2 shown]
	s_lshl_b32 s2, s36, 3
	v_and_b32_e32 v1, 8, v11
	v_add3_u32 v2, v9, s2, v10
	v_mul_lo_u32 v3, s8, v7
	v_cmp_gt_i32_e32 vcc_lo, s15, v7
	v_lshl_or_b32 v4, v0, 2, 28
	s_lshl_b32 s18, s36, 5
	v_add3_u32 v5, v2, 0, 8
	v_mov_b32_e32 v2, 0
	v_cmp_eq_u32_e64 s2, 0, v1
	s_mov_b32 s16, 0
	s_lshl_b32 s17, s8, 3
	s_add_i32 s18, s18, 32
	s_branch .LBB4_60
.LBB4_59:                               ;   in Loop: Header=BB4_60 Depth=1
	s_or_b32 exec_lo, exec_lo, s19
	v_add_nc_u32_e32 v3, s11, v3
	s_add_i32 s16, s16, s15
	s_waitcnt lgkmcnt(0)
	s_waitcnt_vscnt null, 0x0
	s_cmp_ge_i32 s16, s14
	s_barrier
	buffer_gl0_inv
	s_cbranch_scc1 .LBB4_71
.LBB4_60:                               ; =>This Loop Header: Depth=1
                                        ;     Child Loop BB4_65 Depth 2
                                        ;       Child Loop BB4_69 Depth 3
	s_and_saveexec_b32 s19, s0
	s_cbranch_execz .LBB4_59
; %bb.61:                               ;   in Loop: Header=BB4_60 Depth=1
	v_dual_mov_b32 v6, v5 :: v_dual_mov_b32 v1, v8
	s_mov_b32 s22, 0
	s_branch .LBB4_65
.LBB4_62:                               ;   in Loop: Header=BB4_65 Depth=2
	s_or_b32 exec_lo, exec_lo, s29
.LBB4_63:                               ;   in Loop: Header=BB4_65 Depth=2
	s_delay_alu instid0(SALU_CYCLE_1)
	s_or_b32 exec_lo, exec_lo, s28
	s_waitcnt lgkmcnt(0)
	ds_store_b32 v9, v10
.LBB4_64:                               ;   in Loop: Header=BB4_65 Depth=2
	s_or_b32 exec_lo, exec_lo, s23
	v_add_nc_u32_e32 v1, 32, v1
	v_add_nc_u32_e32 v6, 0x80, v6
	s_delay_alu instid0(VALU_DEP_2) | instskip(NEXT) | instid1(VALU_DEP_1)
	v_cmp_le_i32_e64 s3, s36, v1
	s_or_b32 s22, s3, s22
	s_delay_alu instid0(SALU_CYCLE_1)
	s_and_not1_b32 exec_lo, exec_lo, s22
	s_cbranch_execz .LBB4_59
.LBB4_65:                               ;   Parent Loop BB4_60 Depth=1
                                        ; =>  This Loop Header: Depth=2
                                        ;       Child Loop BB4_69 Depth 3
	s_delay_alu instid0(VALU_DEP_1) | instskip(SKIP_1) | instid1(VALU_DEP_1)
	v_lshlrev_b64 v[9:10], 2, v[1:2]
	s_mov_b32 s23, exec_lo
	v_add_co_u32 v9, s3, s20, v9
	s_delay_alu instid0(VALU_DEP_1)
	v_add_co_ci_u32_e64 v10, s3, s21, v10, s3
	global_load_b32 v9, v[9:10], off
	s_waitcnt vmcnt(0)
	v_cmpx_ne_u32_e32 0, v9
	s_cbranch_execz .LBB4_64
; %bb.66:                               ;   in Loop: Header=BB4_65 Depth=2
	v_lshl_add_u32 v9, v1, 2, 0
	ds_load_b32 v10, v9
	s_and_saveexec_b32 s28, vcc_lo
	s_cbranch_execz .LBB4_63
; %bb.67:                               ;   in Loop: Header=BB4_65 Depth=2
	v_dual_mov_b32 v11, v6 :: v_dual_mov_b32 v12, v3
	v_mov_b32_e32 v13, v7
	s_mov_b32 s29, 0
	s_branch .LBB4_69
.LBB4_68:                               ;   in Loop: Header=BB4_69 Depth=3
	s_or_b32 exec_lo, exec_lo, s4
	ds_bpermute_b32 v14, v4, v14
	v_add_nc_u32_e32 v13, 8, v13
	v_add_nc_u32_e32 v12, s17, v12
	;; [unrolled: 1-line block ×3, first 2 shown]
	s_delay_alu instid0(VALU_DEP_3) | instskip(NEXT) | instid1(VALU_DEP_1)
	v_cmp_le_i32_e64 s3, s15, v13
	s_or_b32 s29, s3, s29
	s_waitcnt lgkmcnt(0)
	v_add_nc_u32_e32 v10, v14, v10
	s_and_not1_b32 exec_lo, exec_lo, s29
	s_cbranch_execz .LBB4_62
.LBB4_69:                               ;   Parent Loop BB4_60 Depth=1
                                        ;     Parent Loop BB4_65 Depth=2
                                        ; =>    This Inner Loop Header: Depth=3
	ds_load_b32 v15, v11
	s_waitcnt lgkmcnt(0)
	v_cmp_ne_u32_e64 s3, 0, v15
	s_delay_alu instid0(VALU_DEP_1) | instskip(NEXT) | instid1(VALU_DEP_1)
	v_cndmask_b32_e64 v14, 0, 1, s3
	v_mov_b32_dpp v14, v14 row_shr:1 row_mask:0xf bank_mask:0xf bound_ctrl:1
	s_delay_alu instid0(VALU_DEP_1) | instskip(NEXT) | instid1(VALU_DEP_1)
	v_add_co_ci_u32_e64 v16, s4, 0, v14, s3
	v_mov_b32_dpp v16, v16 row_shr:2 row_mask:0xf bank_mask:0xf bound_ctrl:1
	s_delay_alu instid0(VALU_DEP_1) | instskip(NEXT) | instid1(VALU_DEP_1)
	v_add_co_ci_u32_e64 v14, s4, v16, v14, s3
	v_add_nc_u32_dpp v14, v14, v14 row_shr:4 row_mask:0xf bank_mask:0xf bound_ctrl:1
	s_delay_alu instid0(VALU_DEP_1) | instskip(NEXT) | instid1(VALU_DEP_1)
	v_add_nc_u32_dpp v14, v14, v14 row_shr:8 row_mask:0xf bank_mask:0xf bound_ctrl:1
	v_mov_b32_dpp v16, v14 row_share:7 row_mask:0xf bank_mask:0xf bound_ctrl:1
	s_delay_alu instid0(VALU_DEP_1) | instskip(NEXT) | instid1(VALU_DEP_1)
	v_cndmask_b32_e64 v16, v16, 0, s2
	v_sub_nc_u32_e32 v14, v14, v16
	s_and_saveexec_b32 s4, s3
	s_cbranch_execz .LBB4_68
; %bb.70:                               ;   in Loop: Header=BB4_69 Depth=3
	v_add_nc_u32_e32 v16, v12, v15
	v_add_nc_u32_e32 v18, s16, v13
	s_delay_alu instid0(VALU_DEP_2) | instskip(NEXT) | instid1(VALU_DEP_2)
	v_ashrrev_i32_e32 v17, 31, v16
	v_perm_b32 v18, v15, v18, 0x4020100
	s_delay_alu instid0(VALU_DEP_2) | instskip(NEXT) | instid1(VALU_DEP_2)
	v_lshlrev_b64 v[16:17], 2, v[16:17]
	v_add_nc_u32_e32 v20, 0xff000000, v18
	s_delay_alu instid0(VALU_DEP_2) | instskip(NEXT) | instid1(VALU_DEP_1)
	v_add_co_u32 v16, s3, s7, v16
	v_add_co_ci_u32_e64 v17, s3, s10, v17, s3
	global_load_b32 v19, v[16:17], off
	v_add_nc_u32_e32 v16, v14, v10
	s_delay_alu instid0(VALU_DEP_1) | instskip(NEXT) | instid1(VALU_DEP_1)
	v_ashrrev_i32_e32 v17, 31, v16
	v_lshlrev_b64 v[15:16], 2, v[16:17]
	s_delay_alu instid0(VALU_DEP_1) | instskip(NEXT) | instid1(VALU_DEP_1)
	v_add_co_u32 v17, s3, s5, v15
	v_add_co_ci_u32_e64 v18, s3, s6, v16, s3
	v_add_co_u32 v15, s3, s12, v15
	s_delay_alu instid0(VALU_DEP_1)
	v_add_co_ci_u32_e64 v16, s3, s13, v16, s3
	global_store_b32 v[17:18], v20, off
	s_waitcnt vmcnt(0)
	global_store_b32 v[15:16], v19, off
	s_branch .LBB4_68
.LBB4_71:
	s_and_saveexec_b32 s0, s1
	s_cbranch_execz .LBB4_77
; %bb.72:
	v_mov_b32_e32 v6, 0
	s_and_b32 s0, s14, 0xffffff
	s_lshl_b32 s1, s8, 24
	s_add_i32 s9, s9, 4
	s_or_b32 s1, s0, s1
	s_mov_b32 s2, 0
	s_set_inst_prefetch_distance 0x1
	s_branch .LBB4_74
	.p2align	6
.LBB4_73:                               ;   in Loop: Header=BB4_74 Depth=1
	s_or_b32 exec_lo, exec_lo, s3
	v_add_nc_u32_e32 v0, 0x100, v0
	s_delay_alu instid0(VALU_DEP_1) | instskip(SKIP_1) | instid1(SALU_CYCLE_1)
	v_cmp_le_i32_e32 vcc_lo, s36, v0
	s_or_b32 s2, vcc_lo, s2
	s_and_not1_b32 exec_lo, exec_lo, s2
	s_cbranch_execz .LBB4_77
.LBB4_74:                               ; =>This Loop Header: Depth=1
                                        ;     Child Loop BB4_76 Depth 2
	v_lshlrev_b32_e32 v1, 2, v0
	s_mov_b32 s3, exec_lo
	s_delay_alu instid0(VALU_DEP_1)
	v_add_nc_u32_e32 v2, 0, v1
	v_add_nc_u32_e32 v3, s9, v1
	ds_load_b32 v1, v2
	ds_load_b32 v7, v3
	s_waitcnt lgkmcnt(0)
	v_cmpx_lt_i32_e64 v1, v7
	s_cbranch_execz .LBB4_73
; %bb.75:                               ;   in Loop: Header=BB4_74 Depth=1
	v_ashrrev_i32_e32 v2, 31, v1
	s_mov_b32 s4, 0
	s_delay_alu instid0(VALU_DEP_1) | instskip(NEXT) | instid1(VALU_DEP_1)
	v_lshlrev_b64 v[4:5], 2, v[1:2]
	v_add_co_u32 v2, vcc_lo, s24, v4
	s_delay_alu instid0(VALU_DEP_2)
	v_add_co_ci_u32_e32 v3, vcc_lo, s25, v5, vcc_lo
	v_add_co_u32 v4, vcc_lo, s26, v4
	v_add_co_ci_u32_e32 v5, vcc_lo, s27, v5, vcc_lo
	.p2align	6
.LBB4_76:                               ;   Parent Loop BB4_74 Depth=1
                                        ; =>  This Inner Loop Header: Depth=2
	v_dual_mov_b32 v8, s1 :: v_dual_add_nc_u32 v1, 1, v1
	global_store_b32 v[4:5], v6, off
	v_add_co_u32 v4, vcc_lo, v4, 4
	v_add_co_ci_u32_e32 v5, vcc_lo, 0, v5, vcc_lo
	global_store_b32 v[2:3], v8, off
	v_cmp_ge_i32_e32 vcc_lo, v1, v7
	v_add_co_u32 v2, s0, v2, 4
	s_delay_alu instid0(VALU_DEP_1) | instskip(SKIP_1) | instid1(SALU_CYCLE_1)
	v_add_co_ci_u32_e64 v3, s0, 0, v3, s0
	s_or_b32 s4, vcc_lo, s4
	s_and_not1_b32 exec_lo, exec_lo, s4
	s_cbranch_execnz .LBB4_76
	s_branch .LBB4_73
.LBB4_77:
	s_set_inst_prefetch_distance 0x2
	s_nop 0
	s_sendmsg sendmsg(MSG_DEALLOC_VGPRS)
	s_endpgm
	.section	.rodata,"a",@progbits
	.p2align	6, 0x0
	.amdhsa_kernel _ZN5aiter22opus_moe_sorting_entryINS_16MoeSortingKernelINS_19MoeSortingProblemExIifLi1ELb1ELb1ELb1ELb1ELi0EEEEENS4_5KargsEEEvT0_
		.amdhsa_group_segment_fixed_size 0
		.amdhsa_private_segment_fixed_size 0
		.amdhsa_kernarg_size 400
		.amdhsa_user_sgpr_count 15
		.amdhsa_user_sgpr_dispatch_ptr 0
		.amdhsa_user_sgpr_queue_ptr 0
		.amdhsa_user_sgpr_kernarg_segment_ptr 1
		.amdhsa_user_sgpr_dispatch_id 0
		.amdhsa_user_sgpr_private_segment_size 0
		.amdhsa_wavefront_size32 1
		.amdhsa_uses_dynamic_stack 0
		.amdhsa_enable_private_segment 0
		.amdhsa_system_sgpr_workgroup_id_x 1
		.amdhsa_system_sgpr_workgroup_id_y 0
		.amdhsa_system_sgpr_workgroup_id_z 0
		.amdhsa_system_sgpr_workgroup_info 0
		.amdhsa_system_vgpr_workitem_id 0
		.amdhsa_next_free_vgpr 21
		.amdhsa_next_free_sgpr 44
		.amdhsa_reserve_vcc 1
		.amdhsa_float_round_mode_32 0
		.amdhsa_float_round_mode_16_64 0
		.amdhsa_float_denorm_mode_32 3
		.amdhsa_float_denorm_mode_16_64 3
		.amdhsa_dx10_clamp 1
		.amdhsa_ieee_mode 1
		.amdhsa_fp16_overflow 0
		.amdhsa_workgroup_processor_mode 1
		.amdhsa_memory_ordered 1
		.amdhsa_forward_progress 0
		.amdhsa_shared_vgpr_count 0
		.amdhsa_exception_fp_ieee_invalid_op 0
		.amdhsa_exception_fp_denorm_src 0
		.amdhsa_exception_fp_ieee_div_zero 0
		.amdhsa_exception_fp_ieee_overflow 0
		.amdhsa_exception_fp_ieee_underflow 0
		.amdhsa_exception_fp_ieee_inexact 0
		.amdhsa_exception_int_div_zero 0
	.end_amdhsa_kernel
	.section	.text._ZN5aiter22opus_moe_sorting_entryINS_16MoeSortingKernelINS_19MoeSortingProblemExIifLi1ELb1ELb1ELb1ELb1ELi0EEEEENS4_5KargsEEEvT0_,"axG",@progbits,_ZN5aiter22opus_moe_sorting_entryINS_16MoeSortingKernelINS_19MoeSortingProblemExIifLi1ELb1ELb1ELb1ELb1ELi0EEEEENS4_5KargsEEEvT0_,comdat
.Lfunc_end4:
	.size	_ZN5aiter22opus_moe_sorting_entryINS_16MoeSortingKernelINS_19MoeSortingProblemExIifLi1ELb1ELb1ELb1ELb1ELi0EEEEENS4_5KargsEEEvT0_, .Lfunc_end4-_ZN5aiter22opus_moe_sorting_entryINS_16MoeSortingKernelINS_19MoeSortingProblemExIifLi1ELb1ELb1ELb1ELb1ELi0EEEEENS4_5KargsEEEvT0_
                                        ; -- End function
	.section	.AMDGPU.csdata,"",@progbits
; Kernel info:
; codeLenInByte = 3480
; NumSgprs: 46
; NumVgprs: 21
; ScratchSize: 0
; MemoryBound: 0
; FloatMode: 240
; IeeeMode: 1
; LDSByteSize: 0 bytes/workgroup (compile time only)
; SGPRBlocks: 5
; VGPRBlocks: 2
; NumSGPRsForWavesPerEU: 46
; NumVGPRsForWavesPerEU: 21
; Occupancy: 16
; WaveLimiterHint : 1
; COMPUTE_PGM_RSRC2:SCRATCH_EN: 0
; COMPUTE_PGM_RSRC2:USER_SGPR: 15
; COMPUTE_PGM_RSRC2:TRAP_HANDLER: 0
; COMPUTE_PGM_RSRC2:TGID_X_EN: 1
; COMPUTE_PGM_RSRC2:TGID_Y_EN: 0
; COMPUTE_PGM_RSRC2:TGID_Z_EN: 0
; COMPUTE_PGM_RSRC2:TIDIG_COMP_CNT: 0
	.section	.text._ZN5aiter22opus_moe_sorting_entryINS_16MoeSortingKernelINS_19MoeSortingProblemExIifLi8ELb1ELb1ELb0ELb1ELi0EEEEENS4_5KargsEEEvT0_,"axG",@progbits,_ZN5aiter22opus_moe_sorting_entryINS_16MoeSortingKernelINS_19MoeSortingProblemExIifLi8ELb1ELb1ELb0ELb1ELi0EEEEENS4_5KargsEEEvT0_,comdat
	.protected	_ZN5aiter22opus_moe_sorting_entryINS_16MoeSortingKernelINS_19MoeSortingProblemExIifLi8ELb1ELb1ELb0ELb1ELi0EEEEENS4_5KargsEEEvT0_ ; -- Begin function _ZN5aiter22opus_moe_sorting_entryINS_16MoeSortingKernelINS_19MoeSortingProblemExIifLi8ELb1ELb1ELb0ELb1ELi0EEEEENS4_5KargsEEEvT0_
	.globl	_ZN5aiter22opus_moe_sorting_entryINS_16MoeSortingKernelINS_19MoeSortingProblemExIifLi8ELb1ELb1ELb0ELb1ELi0EEEEENS4_5KargsEEEvT0_
	.p2align	8
	.type	_ZN5aiter22opus_moe_sorting_entryINS_16MoeSortingKernelINS_19MoeSortingProblemExIifLi8ELb1ELb1ELb0ELb1ELi0EEEEENS4_5KargsEEEvT0_,@function
_ZN5aiter22opus_moe_sorting_entryINS_16MoeSortingKernelINS_19MoeSortingProblemExIifLi8ELb1ELb1ELb0ELb1ELi0EEEEENS4_5KargsEEEvT0_: ; @_ZN5aiter22opus_moe_sorting_entryINS_16MoeSortingKernelINS_19MoeSortingProblemExIifLi8ELb1ELb1ELb0ELb1ELi0EEEEENS4_5KargsEEEvT0_
; %bb.0:
	s_clause 0x1
	s_load_b256 s[16:23], s[0:1], 0x20
	s_load_b256 s[24:31], s[0:1], 0x40
	s_cmp_eq_u32 s15, 0
	s_cbranch_scc1 .LBB5_7
; %bb.1:
	s_waitcnt lgkmcnt(0)
	s_cmp_eq_u64 s[24:25], 0
	s_cbranch_scc1 .LBB5_6
; %bb.2:
	s_mul_i32 s2, s30, s28
	s_ashr_i32 s3, s31, 31
	s_mul_hi_u32 s4, s2, s31
	s_mul_i32 s3, s2, s3
	s_mul_hi_i32 s5, s30, s28
	s_add_i32 s3, s4, s3
	s_mul_i32 s5, s5, s31
	s_mul_i32 s2, s2, s31
	s_add_i32 s3, s3, s5
	v_mov_b32_e32 v2, 0
	s_ashr_i32 s4, s3, 31
	s_mov_b32 s7, 0
	s_lshr_b32 s4, s4, 28
	s_delay_alu instid0(SALU_CYCLE_1) | instskip(SKIP_2) | instid1(SALU_CYCLE_1)
	s_add_u32 s2, s2, s4
	s_addc_u32 s3, s3, 0
	s_lshl_b32 s4, s15, 8
	v_add3_u32 v1, v0, s4, 0xffffff00
	s_ashr_i64 s[4:5], s[2:3], 4
	s_mov_b32 s3, exec_lo
	s_delay_alu instid0(VALU_DEP_1)
	v_cmpx_gt_i64_e64 s[4:5], v[1:2]
	s_cbranch_execz .LBB5_5
; %bb.3:
	s_load_b32 s2, s[0:1], 0x90
	v_lshlrev_b64 v[3:4], 4, v[1:2]
	v_dual_mov_b32 v6, v2 :: v_dual_mov_b32 v5, v1
	v_mov_b32_e32 v1, v2
	s_delay_alu instid0(VALU_DEP_3) | instskip(NEXT) | instid1(VALU_DEP_4)
	v_add_co_u32 v7, vcc_lo, s24, v3
	v_add_co_ci_u32_e32 v8, vcc_lo, s25, v4, vcc_lo
	v_mov_b32_e32 v3, v2
	v_mov_b32_e32 v4, v2
	s_waitcnt lgkmcnt(0)
	s_lshl_b32 s2, s2, 8
	s_delay_alu instid0(SALU_CYCLE_1) | instskip(NEXT) | instid1(SALU_CYCLE_1)
	s_add_i32 s6, s2, 0xffffff00
	s_lshl_b64 s[8:9], s[6:7], 4
.LBB5_4:                                ; =>This Inner Loop Header: Depth=1
	v_add_co_u32 v5, vcc_lo, v5, s6
	v_add_co_ci_u32_e32 v6, vcc_lo, 0, v6, vcc_lo
	global_store_b128 v[7:8], v[1:4], off
	v_add_co_u32 v7, s2, v7, s8
	v_cmp_le_i64_e32 vcc_lo, s[4:5], v[5:6]
	v_add_co_ci_u32_e64 v8, s2, s9, v8, s2
	s_or_b32 s7, vcc_lo, s7
	s_delay_alu instid0(SALU_CYCLE_1)
	s_and_not1_b32 exec_lo, exec_lo, s7
	s_cbranch_execnz .LBB5_4
.LBB5_5:
	s_or_b32 exec_lo, exec_lo, s3
.LBB5_6:
	s_cbranch_execz .LBB5_8
	s_branch .LBB5_77
.LBB5_7:
.LBB5_8:
	s_clause 0x3
	s_load_b256 s[36:43], s[0:1], 0x64
	s_load_b128 s[12:15], s[0:1], 0x0
	s_load_b64 s[10:11], s[0:1], 0x10
	s_load_b64 s[0:1], s[0:1], 0x84
	v_lshrrev_b32_e32 v1, 5, v0
	s_waitcnt lgkmcnt(0)
	s_add_i32 s6, s29, 1
	s_mov_b32 s8, exec_lo
	s_delay_alu instid0(VALU_DEP_1) | instskip(SKIP_1) | instid1(SALU_CYCLE_1)
	v_readfirstlane_b32 s31, v1
	s_add_i32 s24, s36, -2
	s_mul_i32 s7, s24, s29
	s_delay_alu instid0(SALU_CYCLE_1)
	v_cmpx_gt_i32_e64 s7, v0
	s_cbranch_execz .LBB5_11
; %bb.9:
	v_dual_mov_b32 v4, 0 :: v_dual_lshlrev_b32 v3, 2, v0
	s_lshl_b32 s2, s29, 3
	v_mad_u64_u32 v[1:2], null, v0, s0, 0
	s_add_i32 s2, s2, 0
	v_mov_b32_e32 v5, v0
	v_add3_u32 v3, s2, v3, 8
	s_mov_b32 s3, 0
	s_sub_i32 s4, s6, s43
	s_mov_b32 s2, s0
	s_lshl_b32 s9, s4, 2
	s_lshl_b64 s[4:5], s[2:3], 8
	.p2align	6
.LBB5_10:                               ; =>This Inner Loop Header: Depth=1
	v_add_nc_u32_e32 v6, v5, v2
	v_add_nc_u32_e32 v5, 0x100, v5
	v_add_co_u32 v1, vcc_lo, v1, s4
	v_add_co_ci_u32_e32 v2, vcc_lo, s5, v2, vcc_lo
	s_delay_alu instid0(VALU_DEP_4) | instskip(NEXT) | instid1(VALU_DEP_4)
	v_lshrrev_b32_e32 v8, s1, v6
	v_cmp_le_i32_e64 s0, s7, v5
	s_delay_alu instid0(VALU_DEP_2) | instskip(SKIP_1) | instid1(VALU_DEP_3)
	v_mad_u64_u32 v[6:7], null, s9, v8, v[3:4]
	v_add_nc_u32_e32 v3, 0x400, v3
	s_or_b32 s3, s0, s3
	ds_store_b32 v6, v4
	s_and_not1_b32 exec_lo, exec_lo, s3
	s_cbranch_execnz .LBB5_10
.LBB5_11:
	s_or_b32 exec_lo, exec_lo, s8
	s_cmp_gt_i32 s28, 0
	s_mov_b32 s3, 0
	s_cselect_b32 s30, -1, 0
	s_cmp_lt_i32 s28, 1
	s_mul_i32 s25, s40, s24
	s_waitcnt lgkmcnt(0)
	s_waitcnt_vscnt null, 0x0
	s_barrier
	buffer_gl0_inv
	s_cbranch_scc1 .LBB5_19
; %bb.12:
	v_mad_u64_u32 v[1:2], null, v0, s41, 0
	v_cmp_gt_i32_e32 vcc_lo, s25, v0
	v_mov_b32_e32 v4, 0
	s_lshl_b32 s0, s6, 3
	s_mov_b32 s2, s41
	s_add_i32 s7, s0, 0
	s_sub_i32 s8, 0, s40
	s_lshl_b64 s[4:5], s[2:3], 8
	s_mov_b32 s2, 0
	s_branch .LBB5_14
.LBB5_13:                               ;   in Loop: Header=BB5_14 Depth=1
	s_set_inst_prefetch_distance 0x2
	s_or_b32 exec_lo, exec_lo, s9
	s_add_i32 s2, s2, s24
	s_add_i32 s3, s3, s25
	s_cmp_ge_i32 s2, s28
	s_waitcnt lgkmcnt(0)
	s_barrier
	buffer_gl0_inv
	s_cbranch_scc1 .LBB5_19
.LBB5_14:                               ; =>This Loop Header: Depth=1
                                        ;     Child Loop BB5_17 Depth 2
	s_and_saveexec_b32 s9, vcc_lo
	s_cbranch_execz .LBB5_13
; %bb.15:                               ;   in Loop: Header=BB5_14 Depth=1
	v_dual_mov_b32 v6, v2 :: v_dual_mov_b32 v5, v1
	v_mov_b32_e32 v7, v0
	s_mov_b32 s33, 0
	s_set_inst_prefetch_distance 0x1
	s_branch .LBB5_17
	.p2align	6
.LBB5_16:                               ;   in Loop: Header=BB5_17 Depth=2
	s_or_b32 exec_lo, exec_lo, s1
	v_add_nc_u32_e32 v7, 0x100, v7
	v_add_co_u32 v5, s1, v5, s4
	s_delay_alu instid0(VALU_DEP_1) | instskip(NEXT) | instid1(VALU_DEP_3)
	v_add_co_ci_u32_e64 v6, s1, s5, v6, s1
	v_cmp_le_i32_e64 s0, s25, v7
	s_waitcnt vmcnt(48) lgkmcnt(7)
	s_delay_alu instid0(VALU_DEP_1) | instskip(NEXT) | instid1(SALU_CYCLE_1)
	s_or_b32 s33, s0, s33
	s_and_not1_b32 exec_lo, exec_lo, s33
	s_cbranch_execz .LBB5_13
.LBB5_17:                               ;   Parent Loop BB5_14 Depth=1
                                        ; =>  This Inner Loop Header: Depth=2
	s_delay_alu instid0(VALU_DEP_1) | instskip(SKIP_1) | instid1(VALU_DEP_1)
	v_add_nc_u32_e32 v3, v7, v6
	s_mov_b32 s1, exec_lo
	v_lshrrev_b32_e32 v8, s42, v3
	s_delay_alu instid0(VALU_DEP_1) | instskip(NEXT) | instid1(VALU_DEP_1)
	v_add_nc_u32_e32 v3, s2, v8
	v_cmpx_gt_i32_e64 s28, v3
	s_cbranch_execz .LBB5_16
; %bb.18:                               ;   in Loop: Header=BB5_17 Depth=2
	v_add_nc_u32_e32 v3, s3, v7
	s_delay_alu instid0(VALU_DEP_1) | instskip(NEXT) | instid1(VALU_DEP_1)
	v_lshlrev_b64 v[9:10], 2, v[3:4]
	v_add_co_u32 v9, s0, s12, v9
	s_delay_alu instid0(VALU_DEP_1) | instskip(SKIP_3) | instid1(VALU_DEP_2)
	v_add_co_ci_u32_e64 v10, s0, s13, v10, s0
	global_load_b32 v3, v[9:10], off
	v_mul_lo_u32 v9, v8, s6
	v_mul_lo_u32 v8, s8, v8
	v_lshlrev_b32_e32 v9, 2, v9
	s_delay_alu instid0(VALU_DEP_2) | instskip(SKIP_2) | instid1(VALU_DEP_1)
	v_add3_u32 v8, v7, v8, 1
	s_waitcnt vmcnt(0)
	v_lshlrev_b32_e32 v3, 2, v3
	v_add3_u32 v3, s7, v3, v9
	ds_store_b32 v3, v8
	s_branch .LBB5_16
.LBB5_19:
	s_mov_b32 s0, exec_lo
	v_cmpx_eq_u32_e32 0, v0
	s_cbranch_execz .LBB5_21
; %bb.20:
	v_mov_b32_e32 v1, 0
	ds_store_b32 v1, v1
.LBB5_21:
	s_or_b32 exec_lo, exec_lo, s0
	v_and_b32_e32 v7, 7, v0
	v_lshrrev_b32_e32 v8, 3, v0
	v_mbcnt_lo_u32_b32 v11, -1, 0
	s_mov_b32 s34, 0
	s_delay_alu instid0(VALU_DEP_3) | instskip(NEXT) | instid1(VALU_DEP_3)
	v_mul_lo_u32 v1, s6, v7
	v_cmp_gt_i32_e64 s0, s29, v8
	v_lshlrev_b32_e32 v10, 2, v8
	s_delay_alu instid0(VALU_DEP_3) | instskip(NEXT) | instid1(VALU_DEP_3)
	v_lshlrev_b32_e32 v9, 2, v1
	s_and_saveexec_b32 s33, s0
	s_cbranch_execz .LBB5_29
; %bb.22:
	s_cmp_gt_i32 s36, 2
	v_lshlrev_b32_e32 v3, 2, v11
	s_cselect_b32 s35, -1, 0
	s_lshl_b32 s1, s29, 3
	v_mov_b32_e32 v5, v8
	v_add3_u32 v4, v9, s1, v10
	v_cmp_eq_u32_e64 s1, 0, v7
	v_xor_b32_e32 v1, 4, v3
	v_xor_b32_e32 v2, 8, v3
	;; [unrolled: 1-line block ×3, first 2 shown]
	v_add3_u32 v4, v4, 0, 8
	s_lshl_b32 s41, s29, 8
	s_lshl_b32 s36, s29, 5
	s_addk_i32 s41, 0x100
	s_add_i32 s42, s36, 32
	s_branch .LBB5_24
.LBB5_23:                               ;   in Loop: Header=BB5_24 Depth=1
	s_or_b32 exec_lo, exec_lo, s2
	v_add_nc_u32_e32 v5, 32, v5
	v_add_nc_u32_e32 v4, 0x80, v4
	s_delay_alu instid0(VALU_DEP_2) | instskip(SKIP_1) | instid1(SALU_CYCLE_1)
	v_cmp_le_i32_e32 vcc_lo, s29, v5
	s_or_b32 s34, vcc_lo, s34
	s_and_not1_b32 exec_lo, exec_lo, s34
	s_cbranch_execz .LBB5_29
.LBB5_24:                               ; =>This Loop Header: Depth=1
                                        ;     Child Loop BB5_26 Depth 2
	v_mov_b32_e32 v6, 0
	s_and_not1_b32 vcc_lo, exec_lo, s35
	s_cbranch_vccnz .LBB5_27
; %bb.25:                               ;   in Loop: Header=BB5_24 Depth=1
	v_mov_b32_e32 v6, 0
	v_mov_b32_e32 v12, v4
	s_mov_b32 s43, 0
.LBB5_26:                               ;   Parent Loop BB5_24 Depth=1
                                        ; =>  This Inner Loop Header: Depth=2
	s_delay_alu instid0(VALU_DEP_1) | instskip(SKIP_2) | instid1(SALU_CYCLE_1)
	v_add_nc_u32_e32 v13, s36, v12
	ds_load_b32 v14, v12
	s_add_i32 s43, s43, 64
	s_cmp_lt_i32 s43, s24
	v_add_nc_u32_e32 v15, s42, v13
	ds_load_b32 v13, v13 offset:32
	v_add_nc_u32_e32 v16, s42, v15
	ds_load_b32 v15, v15 offset:32
	;; [unrolled: 2-line block ×3, first 2 shown]
	v_add_nc_u32_e32 v12, s41, v12
	v_add_nc_u32_e32 v18, s42, v17
	s_waitcnt lgkmcnt(3)
	v_cmp_ne_u32_e32 vcc_lo, 0, v14
	ds_load_b32 v17, v17 offset:32
	ds_load_b32 v19, v18 offset:32
	v_add_nc_u32_e32 v18, s42, v18
	v_cndmask_b32_e64 v14, 0, 1, vcc_lo
	s_waitcnt lgkmcnt(4)
	v_cmp_ne_u32_e64 s2, 0, v13
	ds_load_b32 v20, v18 offset:32
	ds_bpermute_b32 v14, v1, v14
	v_cndmask_b32_e64 v13, 0, 1, s2
	s_waitcnt lgkmcnt(5)
	v_cmp_ne_u32_e64 s3, 0, v15
	v_add_nc_u32_e32 v18, s42, v18
	s_waitcnt lgkmcnt(4)
	v_cmp_ne_u32_e64 s4, 0, v16
	ds_bpermute_b32 v13, v1, v13
	v_cndmask_b32_e64 v15, 0, 1, s3
	ds_load_b32 v18, v18 offset:32
	v_cndmask_b32_e64 v16, 0, 1, s4
	ds_bpermute_b32 v15, v1, v15
	s_waitcnt lgkmcnt(6)
	v_cmp_ne_u32_e64 s5, 0, v17
	ds_bpermute_b32 v16, v1, v16
	v_cndmask_b32_e64 v17, 0, 1, s5
	s_waitcnt lgkmcnt(4)
	v_add_co_ci_u32_e64 v21, s6, 0, v14, vcc_lo
	v_cmp_ne_u32_e64 s6, 0, v19
	ds_bpermute_b32 v17, v1, v17
	ds_bpermute_b32 v21, v2, v21
	s_waitcnt lgkmcnt(5)
	v_add_co_ci_u32_e64 v22, s7, 0, v13, s2
	v_cndmask_b32_e64 v19, 0, 1, s6
	v_cmp_ne_u32_e64 s7, 0, v20
	ds_bpermute_b32 v22, v2, v22
	s_waitcnt lgkmcnt(4)
	v_add_co_ci_u32_e64 v23, s8, 0, v15, s3
	v_cndmask_b32_e64 v20, 0, 1, s7
	ds_bpermute_b32 v19, v1, v19
	v_cmp_ne_u32_e64 s8, 0, v18
	ds_bpermute_b32 v23, v2, v23
	s_waitcnt lgkmcnt(5)
	v_add_co_ci_u32_e64 v24, s9, 0, v16, s4
	ds_bpermute_b32 v20, v1, v20
	v_cndmask_b32_e64 v18, 0, 1, s8
	s_waitcnt lgkmcnt(5)
	v_add_co_ci_u32_e64 v25, s9, 0, v17, s5
	ds_bpermute_b32 v24, v2, v24
	ds_bpermute_b32 v18, v1, v18
	s_waitcnt lgkmcnt(6)
	v_add_co_ci_u32_e32 v14, vcc_lo, v21, v14, vcc_lo
	ds_bpermute_b32 v21, v2, v25
	s_waitcnt lgkmcnt(6)
	v_add_co_ci_u32_e64 v13, vcc_lo, v22, v13, s2
	ds_bpermute_b32 v22, v3, v14
	s_waitcnt lgkmcnt(6)
	v_add_co_ci_u32_e64 v25, vcc_lo, 0, v19, s6
	;; [unrolled: 3-line block ×3, first 2 shown]
	s_waitcnt lgkmcnt(5)
	v_add_co_ci_u32_e64 v26, vcc_lo, 0, v20, s7
	ds_bpermute_b32 v25, v2, v25
	ds_bpermute_b32 v28, v3, v15
	;; [unrolled: 1-line block ×3, first 2 shown]
	s_waitcnt lgkmcnt(6)
	v_add_co_ci_u32_e64 v26, vcc_lo, 0, v18, s8
	v_add_co_ci_u32_e64 v16, vcc_lo, v24, v16, s4
	s_waitcnt lgkmcnt(5)
	v_add_co_ci_u32_e64 v17, vcc_lo, v21, v17, s5
	ds_bpermute_b32 v24, v2, v26
	ds_bpermute_b32 v21, v3, v16
	s_waitcnt lgkmcnt(6)
	v_add3_u32 v6, v14, v6, v22
	ds_bpermute_b32 v14, v3, v17
	s_waitcnt lgkmcnt(6)
	v_add3_u32 v6, v6, v13, v27
	s_waitcnt lgkmcnt(5)
	v_add_co_ci_u32_e64 v19, vcc_lo, v25, v19, s6
	s_waitcnt lgkmcnt(4)
	s_delay_alu instid0(VALU_DEP_2)
	v_add3_u32 v6, v6, v15, v28
	s_waitcnt lgkmcnt(3)
	v_add_co_ci_u32_e64 v13, vcc_lo, v23, v20, s7
	ds_bpermute_b32 v20, v3, v19
	ds_bpermute_b32 v15, v3, v13
	s_waitcnt lgkmcnt(4)
	v_add_co_ci_u32_e64 v18, vcc_lo, v24, v18, s8
	s_waitcnt lgkmcnt(3)
	v_add3_u32 v6, v6, v16, v21
	ds_bpermute_b32 v16, v3, v18
	s_waitcnt lgkmcnt(3)
	v_add3_u32 v6, v6, v17, v14
	s_waitcnt lgkmcnt(2)
	s_delay_alu instid0(VALU_DEP_1) | instskip(SKIP_1) | instid1(VALU_DEP_1)
	v_add3_u32 v6, v6, v19, v20
	s_waitcnt lgkmcnt(1)
	v_add3_u32 v6, v6, v13, v15
	s_waitcnt lgkmcnt(0)
	s_delay_alu instid0(VALU_DEP_1)
	v_add3_u32 v6, v6, v18, v16
	s_cbranch_scc1 .LBB5_26
.LBB5_27:                               ;   in Loop: Header=BB5_24 Depth=1
	s_and_saveexec_b32 s2, s1
	s_cbranch_execz .LBB5_23
; %bb.28:                               ;   in Loop: Header=BB5_24 Depth=1
	v_lshl_add_u32 v12, v5, 2, 0
	ds_store_b32 v12, v6 offset:4
	s_branch .LBB5_23
.LBB5_29:
	s_or_b32 exec_lo, exec_lo, s33
	s_lshl_b32 s4, s29, 2
	v_cmp_gt_i32_e64 s1, s29, v0
	s_add_i32 s6, s4, 0
	s_delay_alu instid0(SALU_CYCLE_1)
	v_dual_mov_b32 v1, 0 :: v_dual_mov_b32 v2, s6
	s_mov_b32 s3, 0
	ds_store_b32 v2, v1 offset:4
	s_and_saveexec_b32 s5, s1
	s_cbranch_execz .LBB5_32
; %bb.30:
	v_dual_mov_b32 v4, v0 :: v_dual_lshlrev_b32 v1, 2, v0
	s_delay_alu instid0(VALU_DEP_1) | instskip(SKIP_1) | instid1(VALU_DEP_1)
	v_add3_u32 v3, s6, v1, 8
	v_add_co_u32 v1, s2, s10, v1
	v_add_co_ci_u32_e64 v2, null, s11, 0, s2
	.p2align	6
.LBB5_31:                               ; =>This Inner Loop Header: Depth=1
	global_load_b32 v5, v[1:2], off
	v_add_nc_u32_e32 v4, 0x100, v4
	v_add_co_u32 v1, vcc_lo, 0x400, v1
	v_add_co_ci_u32_e32 v2, vcc_lo, 0, v2, vcc_lo
	s_delay_alu instid0(VALU_DEP_3) | instskip(NEXT) | instid1(VALU_DEP_1)
	v_cmp_le_i32_e64 s2, s29, v4
	s_or_b32 s3, s2, s3
	s_waitcnt vmcnt(0)
	ds_store_b32 v3, v5
	v_add_nc_u32_e32 v3, 0x400, v3
	s_and_not1_b32 exec_lo, exec_lo, s3
	s_cbranch_execnz .LBB5_31
.LBB5_32:
	s_or_b32 exec_lo, exec_lo, s5
	s_add_i32 s5, s6, 4
	s_cmp_lg_u32 s31, 0
	s_mov_b32 s7, 0
	s_waitcnt lgkmcnt(0)
	s_barrier
	buffer_gl0_inv
	s_cbranch_scc1 .LBB5_43
; %bb.33:
	v_mov_b32_e32 v1, 0
	s_cmp_lt_i32 s29, 1
	s_cbranch_scc1 .LBB5_40
; %bb.34:
	v_lshlrev_b32_e32 v1, 2, v11
	v_cmp_eq_u32_e32 vcc_lo, 0, v11
	v_cmp_lt_u32_e64 s2, 15, v11
	s_add_i32 s8, s37, -1
	s_delay_alu instid0(VALU_DEP_3) | instskip(SKIP_1) | instid1(VALU_DEP_2)
	v_and_b32_e32 v2, 64, v1
	v_add_nc_u32_e32 v3, 0, v1
	v_add_nc_u32_e32 v2, -4, v2
	s_branch .LBB5_36
.LBB5_35:                               ;   in Loop: Header=BB5_36 Depth=1
	s_or_b32 exec_lo, exec_lo, s9
	v_add_nc_u32_e32 v3, 0x80, v3
	s_add_i32 s7, s7, 32
	s_waitcnt vmcnt(48) lgkmcnt(7)
	s_cmp_lt_i32 s7, s29
	s_cbranch_scc0 .LBB5_40
.LBB5_36:                               ; =>This Inner Loop Header: Depth=1
	ds_load_b32 v1, v3 offset:4
	v_add_nc_u32_e32 v4, s4, v3
	s_waitcnt lgkmcnt(1)
	v_cndmask_b32_e64 v6, 0, s7, vcc_lo
	ds_load_b32 v5, v4 offset:8
	v_lshlrev_b32_e32 v6, 2, v6
	s_delay_alu instid0(VALU_DEP_1) | instskip(SKIP_4) | instid1(VALU_DEP_1)
	v_add_nc_u32_e32 v13, 0, v6
	v_add_nc_u32_e32 v6, s5, v6
	ds_load_b32 v6, v6
	s_waitcnt lgkmcnt(2)
	v_add_nc_u32_e32 v1, s8, v1
	v_mul_hi_u32 v12, v1, s38
	s_waitcnt lgkmcnt(1)
	v_cmp_ne_u32_e64 s3, 0, v5
	s_delay_alu instid0(VALU_DEP_2) | instskip(SKIP_3) | instid1(VALU_DEP_1)
	v_add_nc_u32_e32 v1, v1, v12
	ds_load_b32 v12, v13
	v_add_nc_u32_e32 v13, s7, v11
	v_lshrrev_b32_e32 v1, s39, v1
	v_mul_lo_u32 v1, v1, s37
	s_delay_alu instid0(VALU_DEP_1) | instskip(NEXT) | instid1(VALU_DEP_4)
	v_cndmask_b32_e64 v1, 0, v1, s3
	v_cmp_gt_i32_e64 s3, s29, v13
	s_waitcnt lgkmcnt(0)
	s_delay_alu instid0(VALU_DEP_2) | instskip(NEXT) | instid1(VALU_DEP_1)
	v_add_nc_u32_e32 v1, v1, v12
	v_add_nc_u32_dpp v1, v1, v1 row_shr:1 row_mask:0xf bank_mask:0xf bound_ctrl:1
	s_delay_alu instid0(VALU_DEP_1) | instskip(NEXT) | instid1(VALU_DEP_1)
	v_add_nc_u32_dpp v1, v1, v1 row_shr:2 row_mask:0xf bank_mask:0xf bound_ctrl:1
	v_add_nc_u32_dpp v1, v1, v1 row_shr:4 row_mask:0xf bank_mask:0xf bound_ctrl:1
	s_delay_alu instid0(VALU_DEP_1) | instskip(SKIP_3) | instid1(VALU_DEP_1)
	v_add_nc_u32_dpp v1, v1, v1 row_shr:8 row_mask:0xf bank_mask:0xf bound_ctrl:1
	ds_bpermute_b32 v12, v2, v1
	s_waitcnt lgkmcnt(0)
	v_cndmask_b32_e64 v12, 0, v12, s2
	v_add_nc_u32_e32 v1, v1, v12
	s_and_saveexec_b32 s9, s3
	s_cbranch_execz .LBB5_38
; %bb.37:                               ;   in Loop: Header=BB5_36 Depth=1
	ds_store_b32 v3, v1 offset:4
.LBB5_38:                               ;   in Loop: Header=BB5_36 Depth=1
	s_or_b32 exec_lo, exec_lo, s9
	v_add_nc_u32_e32 v5, v5, v6
	s_delay_alu instid0(VALU_DEP_1) | instskip(NEXT) | instid1(VALU_DEP_1)
	v_add_nc_u32_dpp v5, v5, v5 row_shr:1 row_mask:0xf bank_mask:0xf bound_ctrl:1
	v_add_nc_u32_dpp v5, v5, v5 row_shr:2 row_mask:0xf bank_mask:0xf bound_ctrl:1
	s_delay_alu instid0(VALU_DEP_1) | instskip(NEXT) | instid1(VALU_DEP_1)
	v_add_nc_u32_dpp v5, v5, v5 row_shr:4 row_mask:0xf bank_mask:0xf bound_ctrl:1
	v_add_nc_u32_dpp v5, v5, v5 row_shr:8 row_mask:0xf bank_mask:0xf bound_ctrl:1
	ds_bpermute_b32 v6, v2, v5
	s_and_saveexec_b32 s9, s3
	s_cbranch_execz .LBB5_35
; %bb.39:                               ;   in Loop: Header=BB5_36 Depth=1
	s_waitcnt lgkmcnt(0)
	v_cndmask_b32_e64 v6, 0, v6, s2
	s_delay_alu instid0(VALU_DEP_1)
	v_add_nc_u32_e32 v5, v6, v5
	ds_store_b32 v4, v5 offset:8
	s_branch .LBB5_35
.LBB5_40:
	v_add3_u32 v2, v11, s7, 0xffffffe1
	s_mov_b32 s2, exec_lo
	s_delay_alu instid0(VALU_DEP_1)
	v_cmpx_eq_u32_e64 s29, v2
	s_cbranch_execz .LBB5_42
; %bb.41:
	v_dual_mov_b32 v3, 0 :: v_dual_mov_b32 v2, s28
	global_store_b64 v3, v[1:2], s[22:23]
.LBB5_42:
	s_or_b32 exec_lo, exec_lo, s2
.LBB5_43:
	s_cmp_eq_u64 s[26:27], 0
	s_waitcnt lgkmcnt(0)
	s_waitcnt_vscnt null, 0x0
	s_barrier
	buffer_gl0_inv
	s_cbranch_scc1 .LBB5_50
; %bb.44:
	s_mul_i32 s3, s40, s28
	s_mov_b32 s7, exec_lo
	v_cmpx_gt_i32_e64 s3, v0
	s_cbranch_execz .LBB5_49
; %bb.45:
	v_dual_mov_b32 v12, v0 :: v_dual_lshlrev_b32 v3, 2, v0
	s_mov_b32 s8, 0
	s_delay_alu instid0(VALU_DEP_1) | instskip(NEXT) | instid1(VALU_DEP_1)
	v_add_co_u32 v1, s2, s12, v3
	v_add_co_ci_u32_e64 v2, null, s13, 0, s2
	v_add_co_u32 v3, s2, s26, v3
	s_delay_alu instid0(VALU_DEP_1)
	v_add_co_ci_u32_e64 v4, null, s27, 0, s2
	s_set_inst_prefetch_distance 0x1
	s_branch .LBB5_47
	.p2align	6
.LBB5_46:                               ;   in Loop: Header=BB5_47 Depth=1
	s_or_b32 exec_lo, exec_lo, s2
	v_add_nc_u32_e32 v12, 0x100, v12
	v_add_co_u32 v1, vcc_lo, 0x400, v1
	v_add_co_ci_u32_e32 v2, vcc_lo, 0, v2, vcc_lo
	s_waitcnt lgkmcnt(0)
	global_store_b32 v[3:4], v6, off
	v_cmp_le_i32_e32 vcc_lo, s3, v12
	v_add_co_u32 v3, s2, 0x400, v3
	s_delay_alu instid0(VALU_DEP_1) | instskip(SKIP_1) | instid1(SALU_CYCLE_1)
	v_add_co_ci_u32_e64 v4, s2, 0, v4, s2
	s_or_b32 s8, vcc_lo, s8
	s_and_not1_b32 exec_lo, exec_lo, s8
	s_cbranch_execz .LBB5_49
.LBB5_47:                               ; =>This Inner Loop Header: Depth=1
	global_load_b32 v5, v[1:2], off
	s_waitcnt vmcnt(0)
	v_ashrrev_i32_e32 v6, 31, v5
	s_delay_alu instid0(VALU_DEP_1) | instskip(NEXT) | instid1(VALU_DEP_1)
	v_lshlrev_b64 v[13:14], 2, v[5:6]
	v_add_co_u32 v13, vcc_lo, s10, v13
	s_delay_alu instid0(VALU_DEP_2)
	v_add_co_ci_u32_e32 v14, vcc_lo, s11, v14, vcc_lo
	global_load_b32 v6, v[13:14], off
	s_waitcnt vmcnt(0)
	v_cmp_ne_u32_e32 vcc_lo, 0, v6
	v_mov_b32_e32 v6, -1
	s_and_saveexec_b32 s2, vcc_lo
	s_cbranch_execz .LBB5_46
; %bb.48:                               ;   in Loop: Header=BB5_47 Depth=1
	v_lshl_add_u32 v5, v5, 2, s5
	ds_load_b32 v6, v5
	s_branch .LBB5_46
.LBB5_49:
	s_set_inst_prefetch_distance 0x2
	s_or_b32 exec_lo, exec_lo, s7
	s_waitcnt_vscnt null, 0x0
	s_barrier
	buffer_gl0_inv
.LBB5_50:
	s_and_saveexec_b32 s3, s1
	s_cbranch_execz .LBB5_57
; %bb.51:
	v_dual_mov_b32 v2, 0 :: v_dual_mov_b32 v3, v0
	s_mov_b32 s7, 0
	s_branch .LBB5_53
.LBB5_52:                               ;   in Loop: Header=BB5_53 Depth=1
	s_or_b32 exec_lo, exec_lo, s8
	v_add_nc_u32_e32 v3, 0x100, v3
	s_delay_alu instid0(VALU_DEP_1) | instskip(SKIP_1) | instid1(SALU_CYCLE_1)
	v_cmp_le_i32_e32 vcc_lo, s29, v3
	s_or_b32 s7, vcc_lo, s7
	s_and_not1_b32 exec_lo, exec_lo, s7
	s_cbranch_execz .LBB5_57
.LBB5_53:                               ; =>This Loop Header: Depth=1
                                        ;     Child Loop BB5_56 Depth 2
	s_delay_alu instid0(VALU_DEP_1) | instskip(SKIP_1) | instid1(VALU_DEP_1)
	v_lshlrev_b32_e32 v1, 2, v3
	s_mov_b32 s8, exec_lo
	v_add_nc_u32_e32 v4, 0, v1
	v_add_nc_u32_e32 v1, s5, v1
	ds_load_2addr_b32 v[5:6], v4 offset1:1
	s_waitcnt lgkmcnt(2)
	ds_load_b32 v12, v1
	s_waitcnt lgkmcnt(1)
	ds_store_b32 v1, v5
	v_cmpx_ne_u32_e64 v5, v6
	s_cbranch_execz .LBB5_52
; %bb.54:                               ;   in Loop: Header=BB5_53 Depth=1
	v_mov_b32_e32 v4, v2
	v_cmp_lt_i32_e64 s2, v5, v6
	s_delay_alu instid0(VALU_DEP_2) | instskip(NEXT) | instid1(VALU_DEP_1)
	v_lshlrev_b64 v[13:14], 2, v[3:4]
	v_add_co_u32 v13, vcc_lo, s10, v13
	s_delay_alu instid0(VALU_DEP_2) | instskip(SKIP_4) | instid1(SALU_CYCLE_1)
	v_add_co_ci_u32_e32 v14, vcc_lo, s11, v14, vcc_lo
	global_load_b32 v1, v[13:14], off
	s_waitcnt vmcnt(0)
	v_cmp_ne_u32_e32 vcc_lo, 0, v1
	s_and_b32 s2, s2, vcc_lo
	s_and_b32 exec_lo, exec_lo, s2
	s_cbranch_execz .LBB5_52
; %bb.55:                               ;   in Loop: Header=BB5_53 Depth=1
	s_mov_b32 s9, 0
	.p2align	6
.LBB5_56:                               ;   Parent Loop BB5_53 Depth=1
                                        ; =>  This Inner Loop Header: Depth=2
	v_mul_hi_u32 v1, s38, v5
	s_delay_alu instid0(VALU_DEP_1) | instskip(SKIP_1) | instid1(VALU_DEP_2)
	v_add_nc_u32_e32 v1, v5, v1
	v_add_nc_u32_e32 v5, s37, v5
	v_lshrrev_b32_e32 v1, s39, v1
	s_delay_alu instid0(VALU_DEP_2) | instskip(NEXT) | instid1(VALU_DEP_2)
	v_cmp_ge_i32_e32 vcc_lo, v5, v6
	v_lshlrev_b64 v[13:14], 2, v[1:2]
	s_or_b32 s9, vcc_lo, s9
	s_delay_alu instid0(VALU_DEP_1) | instskip(NEXT) | instid1(VALU_DEP_1)
	v_add_co_u32 v13, s2, s20, v13
	v_add_co_ci_u32_e64 v14, s2, s21, v14, s2
	s_waitcnt lgkmcnt(1)
	global_store_b32 v[13:14], v12, off
	s_and_not1_b32 exec_lo, exec_lo, s9
	s_cbranch_execnz .LBB5_56
	s_branch .LBB5_52
.LBB5_57:
	s_or_b32 exec_lo, exec_lo, s3
	s_add_i32 s2, s6, s4
	s_delay_alu instid0(SALU_CYCLE_1)
	v_dual_mov_b32 v1, s6 :: v_dual_mov_b32 v2, s2
	s_waitcnt lgkmcnt(0)
	s_waitcnt_vscnt null, 0x0
	s_barrier
	buffer_gl0_inv
	ds_load_b32 v1, v1
	s_and_not1_b32 vcc_lo, exec_lo, s30
	s_waitcnt lgkmcnt(0)
	ds_store_b32 v2, v1 offset:4
	s_cbranch_vccnz .LBB5_71
; %bb.58:
	s_add_u32 s6, s16, -4
	s_addc_u32 s7, s17, -1
	s_add_u32 s8, s14, -4
	s_addc_u32 s9, s15, -1
	;; [unrolled: 2-line block ×3, first 2 shown]
	s_lshl_b32 s2, s29, 3
	v_and_b32_e32 v1, 8, v11
	v_add3_u32 v2, v9, s2, v10
	v_mul_lo_u32 v3, s40, v7
	v_cmp_gt_i32_e32 vcc_lo, s24, v7
	v_lshl_or_b32 v4, v0, 2, 28
	s_lshl_b32 s20, s29, 5
	v_add3_u32 v5, v2, 0, 8
	v_mov_b32_e32 v2, 0
	v_cmp_eq_u32_e64 s2, 0, v1
	s_mov_b32 s14, 0
	s_lshl_b32 s15, s40, 3
	s_add_i32 s20, s20, 32
	s_branch .LBB5_60
.LBB5_59:                               ;   in Loop: Header=BB5_60 Depth=1
	s_or_b32 exec_lo, exec_lo, s21
	v_add_nc_u32_e32 v3, s25, v3
	s_add_i32 s14, s14, s24
	s_waitcnt lgkmcnt(0)
	s_waitcnt_vscnt null, 0x0
	s_cmp_ge_i32 s14, s28
	s_barrier
	buffer_gl0_inv
	s_cbranch_scc1 .LBB5_71
.LBB5_60:                               ; =>This Loop Header: Depth=1
                                        ;     Child Loop BB5_65 Depth 2
                                        ;       Child Loop BB5_69 Depth 3
	s_and_saveexec_b32 s21, s0
	s_cbranch_execz .LBB5_59
; %bb.61:                               ;   in Loop: Header=BB5_60 Depth=1
	v_dual_mov_b32 v6, v5 :: v_dual_mov_b32 v1, v8
	s_mov_b32 s22, 0
	s_branch .LBB5_65
.LBB5_62:                               ;   in Loop: Header=BB5_65 Depth=2
	s_or_b32 exec_lo, exec_lo, s27
.LBB5_63:                               ;   in Loop: Header=BB5_65 Depth=2
	s_delay_alu instid0(SALU_CYCLE_1)
	s_or_b32 exec_lo, exec_lo, s26
	s_waitcnt lgkmcnt(0)
	ds_store_b32 v9, v10
.LBB5_64:                               ;   in Loop: Header=BB5_65 Depth=2
	s_or_b32 exec_lo, exec_lo, s23
	v_add_nc_u32_e32 v1, 32, v1
	v_add_nc_u32_e32 v6, 0x80, v6
	s_delay_alu instid0(VALU_DEP_2) | instskip(NEXT) | instid1(VALU_DEP_1)
	v_cmp_le_i32_e64 s3, s29, v1
	s_or_b32 s22, s3, s22
	s_delay_alu instid0(SALU_CYCLE_1)
	s_and_not1_b32 exec_lo, exec_lo, s22
	s_cbranch_execz .LBB5_59
.LBB5_65:                               ;   Parent Loop BB5_60 Depth=1
                                        ; =>  This Loop Header: Depth=2
                                        ;       Child Loop BB5_69 Depth 3
	s_delay_alu instid0(VALU_DEP_1) | instskip(SKIP_1) | instid1(VALU_DEP_1)
	v_lshlrev_b64 v[9:10], 2, v[1:2]
	s_mov_b32 s23, exec_lo
	v_add_co_u32 v9, s3, s10, v9
	s_delay_alu instid0(VALU_DEP_1)
	v_add_co_ci_u32_e64 v10, s3, s11, v10, s3
	global_load_b32 v9, v[9:10], off
	s_waitcnt vmcnt(0)
	v_cmpx_ne_u32_e32 0, v9
	s_cbranch_execz .LBB5_64
; %bb.66:                               ;   in Loop: Header=BB5_65 Depth=2
	v_lshl_add_u32 v9, v1, 2, 0
	ds_load_b32 v10, v9
	s_and_saveexec_b32 s26, vcc_lo
	s_cbranch_execz .LBB5_63
; %bb.67:                               ;   in Loop: Header=BB5_65 Depth=2
	v_dual_mov_b32 v11, v6 :: v_dual_mov_b32 v12, v3
	v_mov_b32_e32 v13, v7
	s_mov_b32 s27, 0
	s_branch .LBB5_69
.LBB5_68:                               ;   in Loop: Header=BB5_69 Depth=3
	s_or_b32 exec_lo, exec_lo, s4
	ds_bpermute_b32 v14, v4, v14
	v_add_nc_u32_e32 v13, 8, v13
	v_add_nc_u32_e32 v12, s15, v12
	;; [unrolled: 1-line block ×3, first 2 shown]
	s_delay_alu instid0(VALU_DEP_3) | instskip(NEXT) | instid1(VALU_DEP_1)
	v_cmp_le_i32_e64 s3, s24, v13
	s_or_b32 s27, s3, s27
	s_waitcnt lgkmcnt(0)
	v_add_nc_u32_e32 v10, v14, v10
	s_and_not1_b32 exec_lo, exec_lo, s27
	s_cbranch_execz .LBB5_62
.LBB5_69:                               ;   Parent Loop BB5_60 Depth=1
                                        ;     Parent Loop BB5_65 Depth=2
                                        ; =>    This Inner Loop Header: Depth=3
	ds_load_b32 v15, v11
	s_waitcnt lgkmcnt(0)
	v_cmp_ne_u32_e64 s3, 0, v15
	s_delay_alu instid0(VALU_DEP_1) | instskip(NEXT) | instid1(VALU_DEP_1)
	v_cndmask_b32_e64 v14, 0, 1, s3
	v_mov_b32_dpp v14, v14 row_shr:1 row_mask:0xf bank_mask:0xf bound_ctrl:1
	s_delay_alu instid0(VALU_DEP_1) | instskip(NEXT) | instid1(VALU_DEP_1)
	v_add_co_ci_u32_e64 v16, s4, 0, v14, s3
	v_mov_b32_dpp v16, v16 row_shr:2 row_mask:0xf bank_mask:0xf bound_ctrl:1
	s_delay_alu instid0(VALU_DEP_1) | instskip(NEXT) | instid1(VALU_DEP_1)
	v_add_co_ci_u32_e64 v14, s4, v16, v14, s3
	v_add_nc_u32_dpp v14, v14, v14 row_shr:4 row_mask:0xf bank_mask:0xf bound_ctrl:1
	s_delay_alu instid0(VALU_DEP_1) | instskip(NEXT) | instid1(VALU_DEP_1)
	v_add_nc_u32_dpp v14, v14, v14 row_shr:8 row_mask:0xf bank_mask:0xf bound_ctrl:1
	v_mov_b32_dpp v16, v14 row_share:7 row_mask:0xf bank_mask:0xf bound_ctrl:1
	s_delay_alu instid0(VALU_DEP_1) | instskip(NEXT) | instid1(VALU_DEP_1)
	v_cndmask_b32_e64 v16, v16, 0, s2
	v_sub_nc_u32_e32 v14, v14, v16
	s_and_saveexec_b32 s4, s3
	s_cbranch_execz .LBB5_68
; %bb.70:                               ;   in Loop: Header=BB5_69 Depth=3
	v_add_nc_u32_e32 v16, v12, v15
	v_add_nc_u32_e32 v18, s14, v13
	s_delay_alu instid0(VALU_DEP_2) | instskip(NEXT) | instid1(VALU_DEP_2)
	v_ashrrev_i32_e32 v17, 31, v16
	v_perm_b32 v18, v15, v18, 0x4020100
	s_delay_alu instid0(VALU_DEP_2) | instskip(NEXT) | instid1(VALU_DEP_2)
	v_lshlrev_b64 v[16:17], 2, v[16:17]
	v_add_nc_u32_e32 v20, 0xff000000, v18
	s_delay_alu instid0(VALU_DEP_2) | instskip(NEXT) | instid1(VALU_DEP_1)
	v_add_co_u32 v16, s3, s8, v16
	v_add_co_ci_u32_e64 v17, s3, s9, v17, s3
	global_load_b32 v19, v[16:17], off
	v_add_nc_u32_e32 v16, v14, v10
	s_delay_alu instid0(VALU_DEP_1) | instskip(NEXT) | instid1(VALU_DEP_1)
	v_ashrrev_i32_e32 v17, 31, v16
	v_lshlrev_b64 v[15:16], 2, v[16:17]
	s_delay_alu instid0(VALU_DEP_1) | instskip(NEXT) | instid1(VALU_DEP_1)
	v_add_co_u32 v17, s3, s6, v15
	v_add_co_ci_u32_e64 v18, s3, s7, v16, s3
	v_add_co_u32 v15, s3, s12, v15
	s_delay_alu instid0(VALU_DEP_1)
	v_add_co_ci_u32_e64 v16, s3, s13, v16, s3
	global_store_b32 v[17:18], v20, off
	s_waitcnt vmcnt(0)
	global_store_b32 v[15:16], v19, off
	s_branch .LBB5_68
.LBB5_71:
	s_and_saveexec_b32 s0, s1
	s_cbranch_execz .LBB5_77
; %bb.72:
	v_mov_b32_e32 v6, 0
	s_and_b32 s0, s28, 0xffffff
	s_lshl_b32 s1, s40, 24
	s_add_i32 s5, s5, 4
	s_or_b32 s1, s1, s0
	s_mov_b32 s2, 0
	s_set_inst_prefetch_distance 0x1
	s_branch .LBB5_74
	.p2align	6
.LBB5_73:                               ;   in Loop: Header=BB5_74 Depth=1
	s_or_b32 exec_lo, exec_lo, s3
	v_add_nc_u32_e32 v0, 0x100, v0
	s_delay_alu instid0(VALU_DEP_1) | instskip(SKIP_1) | instid1(SALU_CYCLE_1)
	v_cmp_le_i32_e32 vcc_lo, s29, v0
	s_or_b32 s2, vcc_lo, s2
	s_and_not1_b32 exec_lo, exec_lo, s2
	s_cbranch_execz .LBB5_77
.LBB5_74:                               ; =>This Loop Header: Depth=1
                                        ;     Child Loop BB5_76 Depth 2
	v_lshlrev_b32_e32 v1, 2, v0
	s_mov_b32 s3, exec_lo
	s_delay_alu instid0(VALU_DEP_1)
	v_add_nc_u32_e32 v2, 0, v1
	v_add_nc_u32_e32 v3, s5, v1
	ds_load_b32 v1, v2
	ds_load_b32 v7, v3
	s_waitcnt lgkmcnt(0)
	v_cmpx_lt_i32_e64 v1, v7
	s_cbranch_execz .LBB5_73
; %bb.75:                               ;   in Loop: Header=BB5_74 Depth=1
	v_ashrrev_i32_e32 v2, 31, v1
	s_mov_b32 s4, 0
	s_delay_alu instid0(VALU_DEP_1) | instskip(NEXT) | instid1(VALU_DEP_1)
	v_lshlrev_b64 v[4:5], 2, v[1:2]
	v_add_co_u32 v2, vcc_lo, s16, v4
	s_delay_alu instid0(VALU_DEP_2)
	v_add_co_ci_u32_e32 v3, vcc_lo, s17, v5, vcc_lo
	v_add_co_u32 v4, vcc_lo, s18, v4
	v_add_co_ci_u32_e32 v5, vcc_lo, s19, v5, vcc_lo
	.p2align	6
.LBB5_76:                               ;   Parent Loop BB5_74 Depth=1
                                        ; =>  This Inner Loop Header: Depth=2
	v_dual_mov_b32 v8, s1 :: v_dual_add_nc_u32 v1, 1, v1
	global_store_b32 v[4:5], v6, off
	v_add_co_u32 v4, vcc_lo, v4, 4
	v_add_co_ci_u32_e32 v5, vcc_lo, 0, v5, vcc_lo
	global_store_b32 v[2:3], v8, off
	v_cmp_ge_i32_e32 vcc_lo, v1, v7
	v_add_co_u32 v2, s0, v2, 4
	s_delay_alu instid0(VALU_DEP_1) | instskip(SKIP_1) | instid1(SALU_CYCLE_1)
	v_add_co_ci_u32_e64 v3, s0, 0, v3, s0
	s_or_b32 s4, vcc_lo, s4
	s_and_not1_b32 exec_lo, exec_lo, s4
	s_cbranch_execnz .LBB5_76
	s_branch .LBB5_73
.LBB5_77:
	s_set_inst_prefetch_distance 0x2
	s_nop 0
	s_sendmsg sendmsg(MSG_DEALLOC_VGPRS)
	s_endpgm
	.section	.rodata,"a",@progbits
	.p2align	6, 0x0
	.amdhsa_kernel _ZN5aiter22opus_moe_sorting_entryINS_16MoeSortingKernelINS_19MoeSortingProblemExIifLi8ELb1ELb1ELb0ELb1ELi0EEEEENS4_5KargsEEEvT0_
		.amdhsa_group_segment_fixed_size 0
		.amdhsa_private_segment_fixed_size 0
		.amdhsa_kernarg_size 400
		.amdhsa_user_sgpr_count 15
		.amdhsa_user_sgpr_dispatch_ptr 0
		.amdhsa_user_sgpr_queue_ptr 0
		.amdhsa_user_sgpr_kernarg_segment_ptr 1
		.amdhsa_user_sgpr_dispatch_id 0
		.amdhsa_user_sgpr_private_segment_size 0
		.amdhsa_wavefront_size32 1
		.amdhsa_uses_dynamic_stack 0
		.amdhsa_enable_private_segment 0
		.amdhsa_system_sgpr_workgroup_id_x 1
		.amdhsa_system_sgpr_workgroup_id_y 0
		.amdhsa_system_sgpr_workgroup_id_z 0
		.amdhsa_system_sgpr_workgroup_info 0
		.amdhsa_system_vgpr_workitem_id 0
		.amdhsa_next_free_vgpr 29
		.amdhsa_next_free_sgpr 44
		.amdhsa_reserve_vcc 1
		.amdhsa_float_round_mode_32 0
		.amdhsa_float_round_mode_16_64 0
		.amdhsa_float_denorm_mode_32 3
		.amdhsa_float_denorm_mode_16_64 3
		.amdhsa_dx10_clamp 1
		.amdhsa_ieee_mode 1
		.amdhsa_fp16_overflow 0
		.amdhsa_workgroup_processor_mode 1
		.amdhsa_memory_ordered 1
		.amdhsa_forward_progress 0
		.amdhsa_shared_vgpr_count 0
		.amdhsa_exception_fp_ieee_invalid_op 0
		.amdhsa_exception_fp_denorm_src 0
		.amdhsa_exception_fp_ieee_div_zero 0
		.amdhsa_exception_fp_ieee_overflow 0
		.amdhsa_exception_fp_ieee_underflow 0
		.amdhsa_exception_fp_ieee_inexact 0
		.amdhsa_exception_int_div_zero 0
	.end_amdhsa_kernel
	.section	.text._ZN5aiter22opus_moe_sorting_entryINS_16MoeSortingKernelINS_19MoeSortingProblemExIifLi8ELb1ELb1ELb0ELb1ELi0EEEEENS4_5KargsEEEvT0_,"axG",@progbits,_ZN5aiter22opus_moe_sorting_entryINS_16MoeSortingKernelINS_19MoeSortingProblemExIifLi8ELb1ELb1ELb0ELb1ELi0EEEEENS4_5KargsEEEvT0_,comdat
.Lfunc_end5:
	.size	_ZN5aiter22opus_moe_sorting_entryINS_16MoeSortingKernelINS_19MoeSortingProblemExIifLi8ELb1ELb1ELb0ELb1ELi0EEEEENS4_5KargsEEEvT0_, .Lfunc_end5-_ZN5aiter22opus_moe_sorting_entryINS_16MoeSortingKernelINS_19MoeSortingProblemExIifLi8ELb1ELb1ELb0ELb1ELi0EEEEENS4_5KargsEEEvT0_
                                        ; -- End function
	.section	.AMDGPU.csdata,"",@progbits
; Kernel info:
; codeLenInByte = 4112
; NumSgprs: 46
; NumVgprs: 29
; ScratchSize: 0
; MemoryBound: 0
; FloatMode: 240
; IeeeMode: 1
; LDSByteSize: 0 bytes/workgroup (compile time only)
; SGPRBlocks: 5
; VGPRBlocks: 3
; NumSGPRsForWavesPerEU: 46
; NumVGPRsForWavesPerEU: 29
; Occupancy: 16
; WaveLimiterHint : 1
; COMPUTE_PGM_RSRC2:SCRATCH_EN: 0
; COMPUTE_PGM_RSRC2:USER_SGPR: 15
; COMPUTE_PGM_RSRC2:TRAP_HANDLER: 0
; COMPUTE_PGM_RSRC2:TGID_X_EN: 1
; COMPUTE_PGM_RSRC2:TGID_Y_EN: 0
; COMPUTE_PGM_RSRC2:TGID_Z_EN: 0
; COMPUTE_PGM_RSRC2:TIDIG_COMP_CNT: 0
	.section	.text._ZN5aiter22opus_moe_sorting_entryINS_16MoeSortingKernelINS_19MoeSortingProblemExIifLi4ELb1ELb1ELb0ELb1ELi0EEEEENS4_5KargsEEEvT0_,"axG",@progbits,_ZN5aiter22opus_moe_sorting_entryINS_16MoeSortingKernelINS_19MoeSortingProblemExIifLi4ELb1ELb1ELb0ELb1ELi0EEEEENS4_5KargsEEEvT0_,comdat
	.protected	_ZN5aiter22opus_moe_sorting_entryINS_16MoeSortingKernelINS_19MoeSortingProblemExIifLi4ELb1ELb1ELb0ELb1ELi0EEEEENS4_5KargsEEEvT0_ ; -- Begin function _ZN5aiter22opus_moe_sorting_entryINS_16MoeSortingKernelINS_19MoeSortingProblemExIifLi4ELb1ELb1ELb0ELb1ELi0EEEEENS4_5KargsEEEvT0_
	.globl	_ZN5aiter22opus_moe_sorting_entryINS_16MoeSortingKernelINS_19MoeSortingProblemExIifLi4ELb1ELb1ELb0ELb1ELi0EEEEENS4_5KargsEEEvT0_
	.p2align	8
	.type	_ZN5aiter22opus_moe_sorting_entryINS_16MoeSortingKernelINS_19MoeSortingProblemExIifLi4ELb1ELb1ELb0ELb1ELi0EEEEENS4_5KargsEEEvT0_,@function
_ZN5aiter22opus_moe_sorting_entryINS_16MoeSortingKernelINS_19MoeSortingProblemExIifLi4ELb1ELb1ELb0ELb1ELi0EEEEENS4_5KargsEEEvT0_: ; @_ZN5aiter22opus_moe_sorting_entryINS_16MoeSortingKernelINS_19MoeSortingProblemExIifLi4ELb1ELb1ELb0ELb1ELi0EEEEENS4_5KargsEEEvT0_
; %bb.0:
	s_clause 0x1
	s_load_b256 s[16:23], s[0:1], 0x20
	s_load_b256 s[4:11], s[0:1], 0x40
	s_cmp_eq_u32 s15, 0
	s_cbranch_scc1 .LBB6_7
; %bb.1:
	s_waitcnt lgkmcnt(0)
	s_cmp_eq_u64 s[4:5], 0
	s_cbranch_scc1 .LBB6_6
; %bb.2:
	s_mul_i32 s2, s10, s8
	s_ashr_i32 s3, s11, 31
	s_mul_hi_u32 s12, s2, s11
	s_mul_i32 s3, s2, s3
	s_mul_hi_i32 s10, s10, s8
	s_add_i32 s3, s12, s3
	s_mul_i32 s10, s10, s11
	s_mul_i32 s2, s2, s11
	s_add_i32 s3, s3, s10
	v_mov_b32_e32 v2, 0
	s_ashr_i32 s10, s3, 31
	s_mov_b32 s13, 0
	s_lshr_b32 s10, s10, 28
	s_delay_alu instid0(SALU_CYCLE_1) | instskip(SKIP_2) | instid1(SALU_CYCLE_1)
	s_add_u32 s2, s2, s10
	s_addc_u32 s3, s3, 0
	s_lshl_b32 s10, s15, 8
	v_add3_u32 v1, v0, s10, 0xffffff00
	s_ashr_i64 s[10:11], s[2:3], 4
	s_mov_b32 s3, exec_lo
	s_delay_alu instid0(VALU_DEP_1)
	v_cmpx_gt_i64_e64 s[10:11], v[1:2]
	s_cbranch_execz .LBB6_5
; %bb.3:
	s_load_b32 s2, s[0:1], 0x90
	v_lshlrev_b64 v[3:4], 4, v[1:2]
	v_dual_mov_b32 v6, v2 :: v_dual_mov_b32 v5, v1
	v_mov_b32_e32 v1, v2
	s_delay_alu instid0(VALU_DEP_3) | instskip(NEXT) | instid1(VALU_DEP_4)
	v_add_co_u32 v7, vcc_lo, s4, v3
	v_add_co_ci_u32_e32 v8, vcc_lo, s5, v4, vcc_lo
	v_mov_b32_e32 v3, v2
	v_mov_b32_e32 v4, v2
	s_waitcnt lgkmcnt(0)
	s_lshl_b32 s2, s2, 8
	s_delay_alu instid0(SALU_CYCLE_1) | instskip(NEXT) | instid1(SALU_CYCLE_1)
	s_add_i32 s12, s2, 0xffffff00
	s_lshl_b64 s[4:5], s[12:13], 4
.LBB6_4:                                ; =>This Inner Loop Header: Depth=1
	v_add_co_u32 v5, vcc_lo, v5, s12
	v_add_co_ci_u32_e32 v6, vcc_lo, 0, v6, vcc_lo
	global_store_b128 v[7:8], v[1:4], off
	v_add_co_u32 v7, s2, v7, s4
	v_cmp_le_i64_e32 vcc_lo, s[10:11], v[5:6]
	v_add_co_ci_u32_e64 v8, s2, s5, v8, s2
	s_or_b32 s13, vcc_lo, s13
	s_delay_alu instid0(SALU_CYCLE_1)
	s_and_not1_b32 exec_lo, exec_lo, s13
	s_cbranch_execnz .LBB6_4
.LBB6_5:
	s_or_b32 exec_lo, exec_lo, s3
.LBB6_6:
	s_cbranch_execz .LBB6_8
	s_branch .LBB6_77
.LBB6_7:
.LBB6_8:
	s_clause 0x1
	s_load_b256 s[24:31], s[0:1], 0x64
	s_load_b128 s[12:15], s[0:1], 0x0
	s_waitcnt lgkmcnt(0)
	s_clause 0x1
	s_load_b64 s[10:11], s[0:1], 0x10
	s_load_b64 s[0:1], s[0:1], 0x84
	v_lshrrev_b32_e32 v1, 5, v0
	s_add_i32 s36, s9, 1
	s_mov_b32 s37, exec_lo
	s_delay_alu instid0(VALU_DEP_1) | instskip(SKIP_1) | instid1(SALU_CYCLE_1)
	v_readfirstlane_b32 s35, v1
	s_add_i32 s33, s24, -2
	s_mul_i32 s34, s33, s9
	s_delay_alu instid0(SALU_CYCLE_1)
	v_cmpx_gt_i32_e64 s34, v0
	s_cbranch_execz .LBB6_11
; %bb.9:
	v_dual_mov_b32 v4, 0 :: v_dual_lshlrev_b32 v3, 2, v0
	s_lshl_b32 s2, s9, 3
	s_waitcnt lgkmcnt(0)
	v_mad_u64_u32 v[1:2], null, v0, s0, 0
	s_add_i32 s2, s2, 0
	v_mov_b32_e32 v5, v0
	v_add3_u32 v3, s2, v3, 8
	s_mov_b32 s3, 0
	s_sub_i32 s4, s36, s31
	s_mov_b32 s2, s0
	s_lshl_b32 s31, s4, 2
	s_lshl_b64 s[4:5], s[2:3], 8
	.p2align	6
.LBB6_10:                               ; =>This Inner Loop Header: Depth=1
	v_add_nc_u32_e32 v6, v5, v2
	v_add_nc_u32_e32 v5, 0x100, v5
	v_add_co_u32 v1, vcc_lo, v1, s4
	v_add_co_ci_u32_e32 v2, vcc_lo, s5, v2, vcc_lo
	s_delay_alu instid0(VALU_DEP_4) | instskip(NEXT) | instid1(VALU_DEP_4)
	v_lshrrev_b32_e32 v8, s1, v6
	v_cmp_le_i32_e64 s0, s34, v5
	s_delay_alu instid0(VALU_DEP_2) | instskip(SKIP_1) | instid1(VALU_DEP_3)
	v_mad_u64_u32 v[6:7], null, s31, v8, v[3:4]
	v_add_nc_u32_e32 v3, 0x400, v3
	s_or_b32 s3, s0, s3
	ds_store_b32 v6, v4
	s_and_not1_b32 exec_lo, exec_lo, s3
	s_cbranch_execnz .LBB6_10
.LBB6_11:
	s_or_b32 exec_lo, exec_lo, s37
	s_cmp_gt_i32 s8, 0
	s_mov_b32 s3, 0
	s_cselect_b32 s34, -1, 0
	s_cmp_lt_i32 s8, 1
	s_mul_i32 s31, s28, s33
	s_waitcnt lgkmcnt(0)
	s_waitcnt_vscnt null, 0x0
	s_barrier
	buffer_gl0_inv
	s_cbranch_scc1 .LBB6_19
; %bb.12:
	v_mad_u64_u32 v[1:2], null, v0, s29, 0
	v_cmp_gt_i32_e32 vcc_lo, s31, v0
	v_mov_b32_e32 v4, 0
	s_lshl_b32 s0, s36, 3
	s_mov_b32 s2, s29
	s_add_i32 s37, s0, 0
	s_sub_i32 s29, 0, s28
	s_lshl_b64 s[4:5], s[2:3], 8
	s_mov_b32 s2, 0
	s_branch .LBB6_14
.LBB6_13:                               ;   in Loop: Header=BB6_14 Depth=1
	s_set_inst_prefetch_distance 0x2
	s_or_b32 exec_lo, exec_lo, s38
	s_add_i32 s2, s2, s33
	s_add_i32 s3, s3, s31
	s_cmp_ge_i32 s2, s8
	s_waitcnt lgkmcnt(0)
	s_barrier
	buffer_gl0_inv
	s_cbranch_scc1 .LBB6_19
.LBB6_14:                               ; =>This Loop Header: Depth=1
                                        ;     Child Loop BB6_17 Depth 2
	s_and_saveexec_b32 s38, vcc_lo
	s_cbranch_execz .LBB6_13
; %bb.15:                               ;   in Loop: Header=BB6_14 Depth=1
	v_dual_mov_b32 v6, v2 :: v_dual_mov_b32 v5, v1
	v_mov_b32_e32 v7, v0
	s_mov_b32 s39, 0
	s_set_inst_prefetch_distance 0x1
	s_branch .LBB6_17
	.p2align	6
.LBB6_16:                               ;   in Loop: Header=BB6_17 Depth=2
	s_or_b32 exec_lo, exec_lo, s1
	v_add_nc_u32_e32 v7, 0x100, v7
	v_add_co_u32 v5, s1, v5, s4
	s_delay_alu instid0(VALU_DEP_1) | instskip(NEXT) | instid1(VALU_DEP_3)
	v_add_co_ci_u32_e64 v6, s1, s5, v6, s1
	v_cmp_le_i32_e64 s0, s31, v7
	s_waitcnt vmcnt(48) lgkmcnt(7)
	s_delay_alu instid0(VALU_DEP_1) | instskip(NEXT) | instid1(SALU_CYCLE_1)
	s_or_b32 s39, s0, s39
	s_and_not1_b32 exec_lo, exec_lo, s39
	s_cbranch_execz .LBB6_13
.LBB6_17:                               ;   Parent Loop BB6_14 Depth=1
                                        ; =>  This Inner Loop Header: Depth=2
	s_delay_alu instid0(VALU_DEP_1) | instskip(SKIP_1) | instid1(VALU_DEP_1)
	v_add_nc_u32_e32 v3, v7, v6
	s_mov_b32 s1, exec_lo
	v_lshrrev_b32_e32 v8, s30, v3
	s_delay_alu instid0(VALU_DEP_1) | instskip(NEXT) | instid1(VALU_DEP_1)
	v_add_nc_u32_e32 v3, s2, v8
	v_cmpx_gt_i32_e64 s8, v3
	s_cbranch_execz .LBB6_16
; %bb.18:                               ;   in Loop: Header=BB6_17 Depth=2
	v_add_nc_u32_e32 v3, s3, v7
	s_delay_alu instid0(VALU_DEP_1) | instskip(NEXT) | instid1(VALU_DEP_1)
	v_lshlrev_b64 v[9:10], 2, v[3:4]
	v_add_co_u32 v9, s0, s12, v9
	s_delay_alu instid0(VALU_DEP_1) | instskip(SKIP_3) | instid1(VALU_DEP_2)
	v_add_co_ci_u32_e64 v10, s0, s13, v10, s0
	global_load_b32 v3, v[9:10], off
	v_mul_lo_u32 v9, v8, s36
	v_mul_lo_u32 v8, s29, v8
	v_lshlrev_b32_e32 v9, 2, v9
	s_delay_alu instid0(VALU_DEP_2) | instskip(SKIP_2) | instid1(VALU_DEP_1)
	v_add3_u32 v8, v7, v8, 1
	s_waitcnt vmcnt(0)
	v_lshlrev_b32_e32 v3, 2, v3
	v_add3_u32 v3, s37, v3, v9
	ds_store_b32 v3, v8
	s_branch .LBB6_16
.LBB6_19:
	s_mov_b32 s0, exec_lo
	v_cmpx_eq_u32_e32 0, v0
	s_cbranch_execz .LBB6_21
; %bb.20:
	v_mov_b32_e32 v1, 0
	ds_store_b32 v1, v1
.LBB6_21:
	s_or_b32 exec_lo, exec_lo, s0
	v_and_b32_e32 v7, 7, v0
	v_lshrrev_b32_e32 v8, 3, v0
	v_mbcnt_lo_u32_b32 v11, -1, 0
	s_mov_b32 s30, 0
	s_delay_alu instid0(VALU_DEP_3) | instskip(NEXT) | instid1(VALU_DEP_3)
	v_mul_lo_u32 v1, s36, v7
	v_cmp_gt_i32_e64 s0, s9, v8
	v_lshlrev_b32_e32 v9, 2, v8
	s_delay_alu instid0(VALU_DEP_3) | instskip(NEXT) | instid1(VALU_DEP_3)
	v_lshlrev_b32_e32 v10, 2, v1
	s_and_saveexec_b32 s29, s0
	s_cbranch_execz .LBB6_29
; %bb.22:
	s_cmp_gt_i32 s24, 2
	s_mul_i32 s2, s9, 0x68
	s_mul_i32 s3, s9, 0x48
	s_cselect_b32 s24, -1, 0
	s_add_i32 s2, s2, 0
	s_add_i32 s3, s3, 0
	v_lshlrev_b32_e32 v3, 2, v11
	v_add3_u32 v4, s2, v10, 0x68
	v_add3_u32 v5, s3, v10, 0x48
	s_mul_i32 s2, s9, 40
	s_lshl_b32 s3, s9, 3
	s_add_i32 s2, s2, 0
	s_add_i32 s3, s3, 0
	v_cmp_eq_u32_e64 s1, 0, v7
	v_xor_b32_e32 v1, 4, v3
	v_xor_b32_e32 v2, 8, v3
	v_xor_b32_e32 v3, 16, v3
	v_add3_u32 v6, s2, v10, 40
	v_add3_u32 v12, s3, v10, 8
	v_mov_b32_e32 v13, v8
	s_lshl_b32 s36, s9, 7
	s_delay_alu instid0(SALU_CYCLE_1)
	s_addk_i32 s36, 0x80
	s_branch .LBB6_24
.LBB6_23:                               ;   in Loop: Header=BB6_24 Depth=1
	s_or_b32 exec_lo, exec_lo, s2
	v_add_nc_u32_e32 v13, 32, v13
	v_add_nc_u32_e32 v4, 0x80, v4
	;; [unrolled: 1-line block ×5, first 2 shown]
	v_cmp_le_i32_e32 vcc_lo, s9, v13
	s_or_b32 s30, vcc_lo, s30
	s_delay_alu instid0(SALU_CYCLE_1)
	s_and_not1_b32 exec_lo, exec_lo, s30
	s_cbranch_execz .LBB6_29
.LBB6_24:                               ; =>This Loop Header: Depth=1
                                        ;     Child Loop BB6_26 Depth 2
	v_mov_b32_e32 v14, 0
	s_and_not1_b32 vcc_lo, exec_lo, s24
	s_cbranch_vccnz .LBB6_27
; %bb.25:                               ;   in Loop: Header=BB6_24 Depth=1
	v_dual_mov_b32 v14, 0 :: v_dual_mov_b32 v15, v12
	v_dual_mov_b32 v16, v6 :: v_dual_mov_b32 v17, v5
	v_mov_b32_e32 v18, v4
	s_mov_b32 s37, 0
.LBB6_26:                               ;   Parent Loop BB6_24 Depth=1
                                        ; =>  This Inner Loop Header: Depth=2
	s_delay_alu instid0(VALU_DEP_3) | instskip(NEXT) | instid1(VALU_DEP_3)
	v_add_nc_u32_e32 v19, v15, v9
	v_add_nc_u32_e32 v20, v16, v9
	;; [unrolled: 1-line block ×5, first 2 shown]
	ds_load_b32 v19, v19
	ds_load_b32 v20, v20
	;; [unrolled: 1-line block ×4, first 2 shown]
	v_add_nc_u32_e32 v17, s36, v17
	v_add_nc_u32_e32 v16, s36, v16
	v_add_nc_u32_e32 v15, s36, v15
	s_add_i32 s37, s37, 32
	s_delay_alu instid0(SALU_CYCLE_1)
	s_cmp_lt_i32 s37, s33
	s_waitcnt lgkmcnt(3)
	v_cmp_ne_u32_e32 vcc_lo, 0, v19
	s_waitcnt lgkmcnt(2)
	v_cmp_ne_u32_e64 s2, 0, v20
	s_waitcnt lgkmcnt(1)
	v_cmp_ne_u32_e64 s3, 0, v21
	;; [unrolled: 2-line block ×3, first 2 shown]
	v_cndmask_b32_e64 v19, 0, 1, vcc_lo
	v_cndmask_b32_e64 v20, 0, 1, s2
	v_cndmask_b32_e64 v21, 0, 1, s3
	s_delay_alu instid0(VALU_DEP_4)
	v_cndmask_b32_e64 v22, 0, 1, s4
	ds_bpermute_b32 v19, v1, v19
	ds_bpermute_b32 v20, v1, v20
	;; [unrolled: 1-line block ×4, first 2 shown]
	s_waitcnt lgkmcnt(3)
	v_add_co_ci_u32_e64 v23, s5, 0, v19, vcc_lo
	s_waitcnt lgkmcnt(2)
	v_add_co_ci_u32_e64 v24, s5, 0, v20, s2
	s_waitcnt lgkmcnt(1)
	v_add_co_ci_u32_e64 v25, s5, 0, v21, s3
	ds_bpermute_b32 v23, v2, v23
	ds_bpermute_b32 v24, v2, v24
	s_waitcnt lgkmcnt(2)
	v_add_co_ci_u32_e64 v26, s5, 0, v22, s4
	ds_bpermute_b32 v25, v2, v25
	ds_bpermute_b32 v26, v2, v26
	s_waitcnt lgkmcnt(3)
	v_add_co_ci_u32_e32 v19, vcc_lo, v23, v19, vcc_lo
	s_waitcnt lgkmcnt(2)
	v_add_co_ci_u32_e64 v20, vcc_lo, v24, v20, s2
	s_waitcnt lgkmcnt(1)
	v_add_co_ci_u32_e64 v21, vcc_lo, v25, v21, s3
	ds_bpermute_b32 v23, v3, v19
	ds_bpermute_b32 v24, v3, v20
	s_waitcnt lgkmcnt(2)
	v_add_co_ci_u32_e64 v22, vcc_lo, v26, v22, s4
	ds_bpermute_b32 v25, v3, v21
	ds_bpermute_b32 v26, v3, v22
	s_waitcnt lgkmcnt(3)
	v_add3_u32 v14, v19, v14, v23
	s_waitcnt lgkmcnt(2)
	s_delay_alu instid0(VALU_DEP_1) | instskip(SKIP_1) | instid1(VALU_DEP_1)
	v_add3_u32 v14, v14, v20, v24
	s_waitcnt lgkmcnt(1)
	v_add3_u32 v14, v14, v21, v25
	s_waitcnt lgkmcnt(0)
	s_delay_alu instid0(VALU_DEP_1)
	v_add3_u32 v14, v14, v22, v26
	s_cbranch_scc1 .LBB6_26
.LBB6_27:                               ;   in Loop: Header=BB6_24 Depth=1
	s_and_saveexec_b32 s2, s1
	s_cbranch_execz .LBB6_23
; %bb.28:                               ;   in Loop: Header=BB6_24 Depth=1
	v_lshl_add_u32 v15, v13, 2, 0
	ds_store_b32 v15, v14 offset:4
	s_branch .LBB6_23
.LBB6_29:
	s_or_b32 exec_lo, exec_lo, s29
	s_lshl_b32 s4, s9, 2
	v_cmp_gt_i32_e64 s1, s9, v0
	s_add_i32 s24, s4, 0
	s_delay_alu instid0(SALU_CYCLE_1)
	v_dual_mov_b32 v1, 0 :: v_dual_mov_b32 v2, s24
	s_mov_b32 s3, 0
	ds_store_b32 v2, v1 offset:4
	s_and_saveexec_b32 s5, s1
	s_cbranch_execz .LBB6_32
; %bb.30:
	v_dual_mov_b32 v4, v0 :: v_dual_lshlrev_b32 v1, 2, v0
	s_delay_alu instid0(VALU_DEP_1) | instskip(SKIP_1) | instid1(VALU_DEP_1)
	v_add3_u32 v3, s24, v1, 8
	v_add_co_u32 v1, s2, s10, v1
	v_add_co_ci_u32_e64 v2, null, s11, 0, s2
	.p2align	6
.LBB6_31:                               ; =>This Inner Loop Header: Depth=1
	global_load_b32 v5, v[1:2], off
	v_add_nc_u32_e32 v4, 0x100, v4
	v_add_co_u32 v1, vcc_lo, 0x400, v1
	v_add_co_ci_u32_e32 v2, vcc_lo, 0, v2, vcc_lo
	s_delay_alu instid0(VALU_DEP_3) | instskip(NEXT) | instid1(VALU_DEP_1)
	v_cmp_le_i32_e64 s2, s9, v4
	s_or_b32 s3, s2, s3
	s_waitcnt vmcnt(0)
	ds_store_b32 v3, v5
	v_add_nc_u32_e32 v3, 0x400, v3
	s_and_not1_b32 exec_lo, exec_lo, s3
	s_cbranch_execnz .LBB6_31
.LBB6_32:
	s_or_b32 exec_lo, exec_lo, s5
	s_add_i32 s5, s24, 4
	s_cmp_lg_u32 s35, 0
	s_mov_b32 s29, 0
	s_waitcnt lgkmcnt(0)
	s_barrier
	buffer_gl0_inv
	s_cbranch_scc1 .LBB6_43
; %bb.33:
	v_mov_b32_e32 v1, 0
	s_cmp_lt_i32 s9, 1
	s_cbranch_scc1 .LBB6_40
; %bb.34:
	v_lshlrev_b32_e32 v1, 2, v11
	v_cmp_eq_u32_e32 vcc_lo, 0, v11
	v_cmp_lt_u32_e64 s2, 15, v11
	s_add_i32 s30, s25, -1
	s_delay_alu instid0(VALU_DEP_3) | instskip(SKIP_1) | instid1(VALU_DEP_2)
	v_and_b32_e32 v2, 64, v1
	v_add_nc_u32_e32 v3, 0, v1
	v_add_nc_u32_e32 v2, -4, v2
	s_branch .LBB6_36
.LBB6_35:                               ;   in Loop: Header=BB6_36 Depth=1
	s_or_b32 exec_lo, exec_lo, s35
	v_add_nc_u32_e32 v3, 0x80, v3
	s_add_i32 s29, s29, 32
	s_waitcnt vmcnt(48) lgkmcnt(7)
	s_cmp_lt_i32 s29, s9
	s_cbranch_scc0 .LBB6_40
.LBB6_36:                               ; =>This Inner Loop Header: Depth=1
	ds_load_b32 v1, v3 offset:4
	v_add_nc_u32_e32 v4, s4, v3
	s_waitcnt lgkmcnt(1)
	v_cndmask_b32_e64 v6, 0, s29, vcc_lo
	ds_load_b32 v5, v4 offset:8
	v_lshlrev_b32_e32 v6, 2, v6
	s_delay_alu instid0(VALU_DEP_1) | instskip(SKIP_4) | instid1(VALU_DEP_1)
	v_add_nc_u32_e32 v13, 0, v6
	v_add_nc_u32_e32 v6, s5, v6
	ds_load_b32 v6, v6
	s_waitcnt lgkmcnt(2)
	v_add_nc_u32_e32 v1, s30, v1
	v_mul_hi_u32 v12, v1, s26
	s_waitcnt lgkmcnt(1)
	v_cmp_ne_u32_e64 s3, 0, v5
	s_delay_alu instid0(VALU_DEP_2) | instskip(SKIP_3) | instid1(VALU_DEP_1)
	v_add_nc_u32_e32 v1, v1, v12
	ds_load_b32 v12, v13
	v_add_nc_u32_e32 v13, s29, v11
	v_lshrrev_b32_e32 v1, s27, v1
	v_mul_lo_u32 v1, v1, s25
	s_delay_alu instid0(VALU_DEP_1) | instskip(NEXT) | instid1(VALU_DEP_4)
	v_cndmask_b32_e64 v1, 0, v1, s3
	v_cmp_gt_i32_e64 s3, s9, v13
	s_waitcnt lgkmcnt(0)
	s_delay_alu instid0(VALU_DEP_2) | instskip(NEXT) | instid1(VALU_DEP_1)
	v_add_nc_u32_e32 v1, v1, v12
	v_add_nc_u32_dpp v1, v1, v1 row_shr:1 row_mask:0xf bank_mask:0xf bound_ctrl:1
	s_delay_alu instid0(VALU_DEP_1) | instskip(NEXT) | instid1(VALU_DEP_1)
	v_add_nc_u32_dpp v1, v1, v1 row_shr:2 row_mask:0xf bank_mask:0xf bound_ctrl:1
	v_add_nc_u32_dpp v1, v1, v1 row_shr:4 row_mask:0xf bank_mask:0xf bound_ctrl:1
	s_delay_alu instid0(VALU_DEP_1) | instskip(SKIP_3) | instid1(VALU_DEP_1)
	v_add_nc_u32_dpp v1, v1, v1 row_shr:8 row_mask:0xf bank_mask:0xf bound_ctrl:1
	ds_bpermute_b32 v12, v2, v1
	s_waitcnt lgkmcnt(0)
	v_cndmask_b32_e64 v12, 0, v12, s2
	v_add_nc_u32_e32 v1, v1, v12
	s_and_saveexec_b32 s35, s3
	s_cbranch_execz .LBB6_38
; %bb.37:                               ;   in Loop: Header=BB6_36 Depth=1
	ds_store_b32 v3, v1 offset:4
.LBB6_38:                               ;   in Loop: Header=BB6_36 Depth=1
	s_or_b32 exec_lo, exec_lo, s35
	v_add_nc_u32_e32 v5, v5, v6
	s_delay_alu instid0(VALU_DEP_1) | instskip(NEXT) | instid1(VALU_DEP_1)
	v_add_nc_u32_dpp v5, v5, v5 row_shr:1 row_mask:0xf bank_mask:0xf bound_ctrl:1
	v_add_nc_u32_dpp v5, v5, v5 row_shr:2 row_mask:0xf bank_mask:0xf bound_ctrl:1
	s_delay_alu instid0(VALU_DEP_1) | instskip(NEXT) | instid1(VALU_DEP_1)
	v_add_nc_u32_dpp v5, v5, v5 row_shr:4 row_mask:0xf bank_mask:0xf bound_ctrl:1
	v_add_nc_u32_dpp v5, v5, v5 row_shr:8 row_mask:0xf bank_mask:0xf bound_ctrl:1
	ds_bpermute_b32 v6, v2, v5
	s_and_saveexec_b32 s35, s3
	s_cbranch_execz .LBB6_35
; %bb.39:                               ;   in Loop: Header=BB6_36 Depth=1
	s_waitcnt lgkmcnt(0)
	v_cndmask_b32_e64 v6, 0, v6, s2
	s_delay_alu instid0(VALU_DEP_1)
	v_add_nc_u32_e32 v5, v6, v5
	ds_store_b32 v4, v5 offset:8
	s_branch .LBB6_35
.LBB6_40:
	v_add3_u32 v2, v11, s29, 0xffffffe1
	s_mov_b32 s2, exec_lo
	s_delay_alu instid0(VALU_DEP_1)
	v_cmpx_eq_u32_e64 s9, v2
	s_cbranch_execz .LBB6_42
; %bb.41:
	v_dual_mov_b32 v3, 0 :: v_dual_mov_b32 v2, s8
	global_store_b64 v3, v[1:2], s[22:23]
.LBB6_42:
	s_or_b32 exec_lo, exec_lo, s2
.LBB6_43:
	s_cmp_eq_u64 s[6:7], 0
	s_waitcnt lgkmcnt(0)
	s_waitcnt_vscnt null, 0x0
	s_barrier
	buffer_gl0_inv
	s_cbranch_scc1 .LBB6_50
; %bb.44:
	s_mul_i32 s3, s28, s8
	s_mov_b32 s22, exec_lo
	v_cmpx_gt_i32_e64 s3, v0
	s_cbranch_execz .LBB6_49
; %bb.45:
	v_dual_mov_b32 v12, v0 :: v_dual_lshlrev_b32 v3, 2, v0
	s_delay_alu instid0(VALU_DEP_1) | instskip(NEXT) | instid1(VALU_DEP_1)
	v_add_co_u32 v1, s2, s12, v3
	v_add_co_ci_u32_e64 v2, null, s13, 0, s2
	v_add_co_u32 v3, s2, s6, v3
	s_delay_alu instid0(VALU_DEP_1)
	v_add_co_ci_u32_e64 v4, null, s7, 0, s2
	s_mov_b32 s6, 0
	s_set_inst_prefetch_distance 0x1
	s_branch .LBB6_47
	.p2align	6
.LBB6_46:                               ;   in Loop: Header=BB6_47 Depth=1
	s_or_b32 exec_lo, exec_lo, s2
	v_add_nc_u32_e32 v12, 0x100, v12
	v_add_co_u32 v1, vcc_lo, 0x400, v1
	v_add_co_ci_u32_e32 v2, vcc_lo, 0, v2, vcc_lo
	s_waitcnt lgkmcnt(0)
	global_store_b32 v[3:4], v6, off
	v_cmp_le_i32_e32 vcc_lo, s3, v12
	v_add_co_u32 v3, s2, 0x400, v3
	s_delay_alu instid0(VALU_DEP_1) | instskip(SKIP_1) | instid1(SALU_CYCLE_1)
	v_add_co_ci_u32_e64 v4, s2, 0, v4, s2
	s_or_b32 s6, vcc_lo, s6
	s_and_not1_b32 exec_lo, exec_lo, s6
	s_cbranch_execz .LBB6_49
.LBB6_47:                               ; =>This Inner Loop Header: Depth=1
	global_load_b32 v5, v[1:2], off
	s_waitcnt vmcnt(0)
	v_ashrrev_i32_e32 v6, 31, v5
	s_delay_alu instid0(VALU_DEP_1) | instskip(NEXT) | instid1(VALU_DEP_1)
	v_lshlrev_b64 v[13:14], 2, v[5:6]
	v_add_co_u32 v13, vcc_lo, s10, v13
	s_delay_alu instid0(VALU_DEP_2)
	v_add_co_ci_u32_e32 v14, vcc_lo, s11, v14, vcc_lo
	global_load_b32 v6, v[13:14], off
	s_waitcnt vmcnt(0)
	v_cmp_ne_u32_e32 vcc_lo, 0, v6
	v_mov_b32_e32 v6, -1
	s_and_saveexec_b32 s2, vcc_lo
	s_cbranch_execz .LBB6_46
; %bb.48:                               ;   in Loop: Header=BB6_47 Depth=1
	v_lshl_add_u32 v5, v5, 2, s5
	ds_load_b32 v6, v5
	s_branch .LBB6_46
.LBB6_49:
	s_set_inst_prefetch_distance 0x2
	s_or_b32 exec_lo, exec_lo, s22
	s_waitcnt_vscnt null, 0x0
	s_barrier
	buffer_gl0_inv
.LBB6_50:
	s_and_saveexec_b32 s3, s1
	s_cbranch_execz .LBB6_57
; %bb.51:
	v_dual_mov_b32 v2, 0 :: v_dual_mov_b32 v3, v0
	s_mov_b32 s6, 0
	s_branch .LBB6_53
.LBB6_52:                               ;   in Loop: Header=BB6_53 Depth=1
	s_or_b32 exec_lo, exec_lo, s7
	v_add_nc_u32_e32 v3, 0x100, v3
	s_delay_alu instid0(VALU_DEP_1) | instskip(SKIP_1) | instid1(SALU_CYCLE_1)
	v_cmp_le_i32_e32 vcc_lo, s9, v3
	s_or_b32 s6, vcc_lo, s6
	s_and_not1_b32 exec_lo, exec_lo, s6
	s_cbranch_execz .LBB6_57
.LBB6_53:                               ; =>This Loop Header: Depth=1
                                        ;     Child Loop BB6_56 Depth 2
	s_delay_alu instid0(VALU_DEP_1) | instskip(SKIP_1) | instid1(VALU_DEP_1)
	v_lshlrev_b32_e32 v1, 2, v3
	s_mov_b32 s7, exec_lo
	v_add_nc_u32_e32 v4, 0, v1
	v_add_nc_u32_e32 v1, s5, v1
	ds_load_2addr_b32 v[5:6], v4 offset1:1
	s_waitcnt lgkmcnt(2)
	ds_load_b32 v12, v1
	s_waitcnt lgkmcnt(1)
	ds_store_b32 v1, v5
	v_cmpx_ne_u32_e64 v5, v6
	s_cbranch_execz .LBB6_52
; %bb.54:                               ;   in Loop: Header=BB6_53 Depth=1
	v_mov_b32_e32 v4, v2
	v_cmp_lt_i32_e64 s2, v5, v6
	s_delay_alu instid0(VALU_DEP_2) | instskip(NEXT) | instid1(VALU_DEP_1)
	v_lshlrev_b64 v[13:14], 2, v[3:4]
	v_add_co_u32 v13, vcc_lo, s10, v13
	s_delay_alu instid0(VALU_DEP_2) | instskip(SKIP_4) | instid1(SALU_CYCLE_1)
	v_add_co_ci_u32_e32 v14, vcc_lo, s11, v14, vcc_lo
	global_load_b32 v1, v[13:14], off
	s_waitcnt vmcnt(0)
	v_cmp_ne_u32_e32 vcc_lo, 0, v1
	s_and_b32 s2, s2, vcc_lo
	s_and_b32 exec_lo, exec_lo, s2
	s_cbranch_execz .LBB6_52
; %bb.55:                               ;   in Loop: Header=BB6_53 Depth=1
	s_mov_b32 s12, 0
	.p2align	6
.LBB6_56:                               ;   Parent Loop BB6_53 Depth=1
                                        ; =>  This Inner Loop Header: Depth=2
	v_mul_hi_u32 v1, s26, v5
	s_delay_alu instid0(VALU_DEP_1) | instskip(SKIP_1) | instid1(VALU_DEP_2)
	v_add_nc_u32_e32 v1, v5, v1
	v_add_nc_u32_e32 v5, s25, v5
	v_lshrrev_b32_e32 v1, s27, v1
	s_delay_alu instid0(VALU_DEP_2) | instskip(NEXT) | instid1(VALU_DEP_2)
	v_cmp_ge_i32_e32 vcc_lo, v5, v6
	v_lshlrev_b64 v[13:14], 2, v[1:2]
	s_or_b32 s12, vcc_lo, s12
	s_delay_alu instid0(VALU_DEP_1) | instskip(NEXT) | instid1(VALU_DEP_1)
	v_add_co_u32 v13, s2, s20, v13
	v_add_co_ci_u32_e64 v14, s2, s21, v14, s2
	s_waitcnt lgkmcnt(1)
	global_store_b32 v[13:14], v12, off
	s_and_not1_b32 exec_lo, exec_lo, s12
	s_cbranch_execnz .LBB6_56
	s_branch .LBB6_52
.LBB6_57:
	s_or_b32 exec_lo, exec_lo, s3
	s_add_i32 s2, s24, s4
	s_delay_alu instid0(SALU_CYCLE_1)
	v_dual_mov_b32 v1, s24 :: v_dual_mov_b32 v2, s2
	s_waitcnt lgkmcnt(0)
	s_waitcnt_vscnt null, 0x0
	s_barrier
	buffer_gl0_inv
	ds_load_b32 v1, v1
	s_and_not1_b32 vcc_lo, exec_lo, s34
	s_waitcnt lgkmcnt(0)
	ds_store_b32 v2, v1 offset:4
	s_cbranch_vccnz .LBB6_71
; %bb.58:
	s_add_u32 s6, s16, -4
	s_addc_u32 s7, s17, -1
	s_add_u32 s12, s14, -4
	s_addc_u32 s13, s15, -1
	;; [unrolled: 2-line block ×3, first 2 shown]
	s_lshl_b32 s2, s9, 3
	v_and_b32_e32 v1, 8, v11
	v_add3_u32 v2, v10, s2, v9
	v_mul_lo_u32 v3, s28, v7
	v_cmp_gt_i32_e32 vcc_lo, s33, v7
	v_lshl_or_b32 v4, v0, 2, 28
	s_lshl_b32 s22, s9, 5
	v_add3_u32 v5, v2, 0, 8
	v_mov_b32_e32 v2, 0
	v_cmp_eq_u32_e64 s2, 0, v1
	s_mov_b32 s20, 0
	s_lshl_b32 s21, s28, 3
	s_add_i32 s22, s22, 32
	s_branch .LBB6_60
.LBB6_59:                               ;   in Loop: Header=BB6_60 Depth=1
	s_or_b32 exec_lo, exec_lo, s23
	v_add_nc_u32_e32 v3, s31, v3
	s_add_i32 s20, s20, s33
	s_waitcnt lgkmcnt(0)
	s_waitcnt_vscnt null, 0x0
	s_cmp_ge_i32 s20, s8
	s_barrier
	buffer_gl0_inv
	s_cbranch_scc1 .LBB6_71
.LBB6_60:                               ; =>This Loop Header: Depth=1
                                        ;     Child Loop BB6_65 Depth 2
                                        ;       Child Loop BB6_69 Depth 3
	s_and_saveexec_b32 s23, s0
	s_cbranch_execz .LBB6_59
; %bb.61:                               ;   in Loop: Header=BB6_60 Depth=1
	v_dual_mov_b32 v6, v5 :: v_dual_mov_b32 v1, v8
	s_mov_b32 s24, 0
	s_branch .LBB6_65
.LBB6_62:                               ;   in Loop: Header=BB6_65 Depth=2
	s_or_b32 exec_lo, exec_lo, s27
.LBB6_63:                               ;   in Loop: Header=BB6_65 Depth=2
	s_delay_alu instid0(SALU_CYCLE_1)
	s_or_b32 exec_lo, exec_lo, s26
	s_waitcnt lgkmcnt(0)
	ds_store_b32 v9, v10
.LBB6_64:                               ;   in Loop: Header=BB6_65 Depth=2
	s_or_b32 exec_lo, exec_lo, s25
	v_add_nc_u32_e32 v1, 32, v1
	v_add_nc_u32_e32 v6, 0x80, v6
	s_delay_alu instid0(VALU_DEP_2) | instskip(NEXT) | instid1(VALU_DEP_1)
	v_cmp_le_i32_e64 s3, s9, v1
	s_or_b32 s24, s3, s24
	s_delay_alu instid0(SALU_CYCLE_1)
	s_and_not1_b32 exec_lo, exec_lo, s24
	s_cbranch_execz .LBB6_59
.LBB6_65:                               ;   Parent Loop BB6_60 Depth=1
                                        ; =>  This Loop Header: Depth=2
                                        ;       Child Loop BB6_69 Depth 3
	s_delay_alu instid0(VALU_DEP_1) | instskip(SKIP_1) | instid1(VALU_DEP_1)
	v_lshlrev_b64 v[9:10], 2, v[1:2]
	s_mov_b32 s25, exec_lo
	v_add_co_u32 v9, s3, s10, v9
	s_delay_alu instid0(VALU_DEP_1)
	v_add_co_ci_u32_e64 v10, s3, s11, v10, s3
	global_load_b32 v9, v[9:10], off
	s_waitcnt vmcnt(0)
	v_cmpx_ne_u32_e32 0, v9
	s_cbranch_execz .LBB6_64
; %bb.66:                               ;   in Loop: Header=BB6_65 Depth=2
	v_lshl_add_u32 v9, v1, 2, 0
	ds_load_b32 v10, v9
	s_and_saveexec_b32 s26, vcc_lo
	s_cbranch_execz .LBB6_63
; %bb.67:                               ;   in Loop: Header=BB6_65 Depth=2
	v_dual_mov_b32 v11, v6 :: v_dual_mov_b32 v12, v3
	v_mov_b32_e32 v13, v7
	s_mov_b32 s27, 0
	s_branch .LBB6_69
.LBB6_68:                               ;   in Loop: Header=BB6_69 Depth=3
	s_or_b32 exec_lo, exec_lo, s4
	ds_bpermute_b32 v14, v4, v14
	v_add_nc_u32_e32 v13, 8, v13
	v_add_nc_u32_e32 v12, s21, v12
	;; [unrolled: 1-line block ×3, first 2 shown]
	s_delay_alu instid0(VALU_DEP_3) | instskip(NEXT) | instid1(VALU_DEP_1)
	v_cmp_le_i32_e64 s3, s33, v13
	s_or_b32 s27, s3, s27
	s_waitcnt lgkmcnt(0)
	v_add_nc_u32_e32 v10, v14, v10
	s_and_not1_b32 exec_lo, exec_lo, s27
	s_cbranch_execz .LBB6_62
.LBB6_69:                               ;   Parent Loop BB6_60 Depth=1
                                        ;     Parent Loop BB6_65 Depth=2
                                        ; =>    This Inner Loop Header: Depth=3
	ds_load_b32 v15, v11
	s_waitcnt lgkmcnt(0)
	v_cmp_ne_u32_e64 s3, 0, v15
	s_delay_alu instid0(VALU_DEP_1) | instskip(NEXT) | instid1(VALU_DEP_1)
	v_cndmask_b32_e64 v14, 0, 1, s3
	v_mov_b32_dpp v14, v14 row_shr:1 row_mask:0xf bank_mask:0xf bound_ctrl:1
	s_delay_alu instid0(VALU_DEP_1) | instskip(NEXT) | instid1(VALU_DEP_1)
	v_add_co_ci_u32_e64 v16, s4, 0, v14, s3
	v_mov_b32_dpp v16, v16 row_shr:2 row_mask:0xf bank_mask:0xf bound_ctrl:1
	s_delay_alu instid0(VALU_DEP_1) | instskip(NEXT) | instid1(VALU_DEP_1)
	v_add_co_ci_u32_e64 v14, s4, v16, v14, s3
	v_add_nc_u32_dpp v14, v14, v14 row_shr:4 row_mask:0xf bank_mask:0xf bound_ctrl:1
	s_delay_alu instid0(VALU_DEP_1) | instskip(NEXT) | instid1(VALU_DEP_1)
	v_add_nc_u32_dpp v14, v14, v14 row_shr:8 row_mask:0xf bank_mask:0xf bound_ctrl:1
	v_mov_b32_dpp v16, v14 row_share:7 row_mask:0xf bank_mask:0xf bound_ctrl:1
	s_delay_alu instid0(VALU_DEP_1) | instskip(NEXT) | instid1(VALU_DEP_1)
	v_cndmask_b32_e64 v16, v16, 0, s2
	v_sub_nc_u32_e32 v14, v14, v16
	s_and_saveexec_b32 s4, s3
	s_cbranch_execz .LBB6_68
; %bb.70:                               ;   in Loop: Header=BB6_69 Depth=3
	v_add_nc_u32_e32 v16, v12, v15
	v_add_nc_u32_e32 v18, s20, v13
	s_delay_alu instid0(VALU_DEP_2) | instskip(NEXT) | instid1(VALU_DEP_2)
	v_ashrrev_i32_e32 v17, 31, v16
	v_perm_b32 v18, v15, v18, 0x4020100
	s_delay_alu instid0(VALU_DEP_2) | instskip(NEXT) | instid1(VALU_DEP_2)
	v_lshlrev_b64 v[16:17], 2, v[16:17]
	v_add_nc_u32_e32 v20, 0xff000000, v18
	s_delay_alu instid0(VALU_DEP_2) | instskip(NEXT) | instid1(VALU_DEP_1)
	v_add_co_u32 v16, s3, s12, v16
	v_add_co_ci_u32_e64 v17, s3, s13, v17, s3
	global_load_b32 v19, v[16:17], off
	v_add_nc_u32_e32 v16, v14, v10
	s_delay_alu instid0(VALU_DEP_1) | instskip(NEXT) | instid1(VALU_DEP_1)
	v_ashrrev_i32_e32 v17, 31, v16
	v_lshlrev_b64 v[15:16], 2, v[16:17]
	s_delay_alu instid0(VALU_DEP_1) | instskip(NEXT) | instid1(VALU_DEP_1)
	v_add_co_u32 v17, s3, s6, v15
	v_add_co_ci_u32_e64 v18, s3, s7, v16, s3
	v_add_co_u32 v15, s3, s14, v15
	s_delay_alu instid0(VALU_DEP_1)
	v_add_co_ci_u32_e64 v16, s3, s15, v16, s3
	global_store_b32 v[17:18], v20, off
	s_waitcnt vmcnt(0)
	global_store_b32 v[15:16], v19, off
	s_branch .LBB6_68
.LBB6_71:
	s_and_saveexec_b32 s0, s1
	s_cbranch_execz .LBB6_77
; %bb.72:
	v_mov_b32_e32 v6, 0
	s_and_b32 s0, s8, 0xffffff
	s_lshl_b32 s1, s28, 24
	s_add_i32 s5, s5, 4
	s_or_b32 s1, s1, s0
	s_mov_b32 s2, 0
	s_set_inst_prefetch_distance 0x1
	s_branch .LBB6_74
	.p2align	6
.LBB6_73:                               ;   in Loop: Header=BB6_74 Depth=1
	s_or_b32 exec_lo, exec_lo, s3
	v_add_nc_u32_e32 v0, 0x100, v0
	s_delay_alu instid0(VALU_DEP_1) | instskip(SKIP_1) | instid1(SALU_CYCLE_1)
	v_cmp_le_i32_e32 vcc_lo, s9, v0
	s_or_b32 s2, vcc_lo, s2
	s_and_not1_b32 exec_lo, exec_lo, s2
	s_cbranch_execz .LBB6_77
.LBB6_74:                               ; =>This Loop Header: Depth=1
                                        ;     Child Loop BB6_76 Depth 2
	v_lshlrev_b32_e32 v1, 2, v0
	s_mov_b32 s3, exec_lo
	s_delay_alu instid0(VALU_DEP_1)
	v_add_nc_u32_e32 v2, 0, v1
	v_add_nc_u32_e32 v3, s5, v1
	ds_load_b32 v1, v2
	ds_load_b32 v7, v3
	s_waitcnt lgkmcnt(0)
	v_cmpx_lt_i32_e64 v1, v7
	s_cbranch_execz .LBB6_73
; %bb.75:                               ;   in Loop: Header=BB6_74 Depth=1
	v_ashrrev_i32_e32 v2, 31, v1
	s_mov_b32 s4, 0
	s_delay_alu instid0(VALU_DEP_1) | instskip(NEXT) | instid1(VALU_DEP_1)
	v_lshlrev_b64 v[4:5], 2, v[1:2]
	v_add_co_u32 v2, vcc_lo, s16, v4
	s_delay_alu instid0(VALU_DEP_2)
	v_add_co_ci_u32_e32 v3, vcc_lo, s17, v5, vcc_lo
	v_add_co_u32 v4, vcc_lo, s18, v4
	v_add_co_ci_u32_e32 v5, vcc_lo, s19, v5, vcc_lo
	.p2align	6
.LBB6_76:                               ;   Parent Loop BB6_74 Depth=1
                                        ; =>  This Inner Loop Header: Depth=2
	v_dual_mov_b32 v8, s1 :: v_dual_add_nc_u32 v1, 1, v1
	global_store_b32 v[4:5], v6, off
	v_add_co_u32 v4, vcc_lo, v4, 4
	v_add_co_ci_u32_e32 v5, vcc_lo, 0, v5, vcc_lo
	global_store_b32 v[2:3], v8, off
	v_cmp_ge_i32_e32 vcc_lo, v1, v7
	v_add_co_u32 v2, s0, v2, 4
	s_delay_alu instid0(VALU_DEP_1) | instskip(SKIP_1) | instid1(SALU_CYCLE_1)
	v_add_co_ci_u32_e64 v3, s0, 0, v3, s0
	s_or_b32 s4, vcc_lo, s4
	s_and_not1_b32 exec_lo, exec_lo, s4
	s_cbranch_execnz .LBB6_76
	s_branch .LBB6_73
.LBB6_77:
	s_set_inst_prefetch_distance 0x2
	s_nop 0
	s_sendmsg sendmsg(MSG_DEALLOC_VGPRS)
	s_endpgm
	.section	.rodata,"a",@progbits
	.p2align	6, 0x0
	.amdhsa_kernel _ZN5aiter22opus_moe_sorting_entryINS_16MoeSortingKernelINS_19MoeSortingProblemExIifLi4ELb1ELb1ELb0ELb1ELi0EEEEENS4_5KargsEEEvT0_
		.amdhsa_group_segment_fixed_size 0
		.amdhsa_private_segment_fixed_size 0
		.amdhsa_kernarg_size 400
		.amdhsa_user_sgpr_count 15
		.amdhsa_user_sgpr_dispatch_ptr 0
		.amdhsa_user_sgpr_queue_ptr 0
		.amdhsa_user_sgpr_kernarg_segment_ptr 1
		.amdhsa_user_sgpr_dispatch_id 0
		.amdhsa_user_sgpr_private_segment_size 0
		.amdhsa_wavefront_size32 1
		.amdhsa_uses_dynamic_stack 0
		.amdhsa_enable_private_segment 0
		.amdhsa_system_sgpr_workgroup_id_x 1
		.amdhsa_system_sgpr_workgroup_id_y 0
		.amdhsa_system_sgpr_workgroup_id_z 0
		.amdhsa_system_sgpr_workgroup_info 0
		.amdhsa_system_vgpr_workitem_id 0
		.amdhsa_next_free_vgpr 27
		.amdhsa_next_free_sgpr 40
		.amdhsa_reserve_vcc 1
		.amdhsa_float_round_mode_32 0
		.amdhsa_float_round_mode_16_64 0
		.amdhsa_float_denorm_mode_32 3
		.amdhsa_float_denorm_mode_16_64 3
		.amdhsa_dx10_clamp 1
		.amdhsa_ieee_mode 1
		.amdhsa_fp16_overflow 0
		.amdhsa_workgroup_processor_mode 1
		.amdhsa_memory_ordered 1
		.amdhsa_forward_progress 0
		.amdhsa_shared_vgpr_count 0
		.amdhsa_exception_fp_ieee_invalid_op 0
		.amdhsa_exception_fp_denorm_src 0
		.amdhsa_exception_fp_ieee_div_zero 0
		.amdhsa_exception_fp_ieee_overflow 0
		.amdhsa_exception_fp_ieee_underflow 0
		.amdhsa_exception_fp_ieee_inexact 0
		.amdhsa_exception_int_div_zero 0
	.end_amdhsa_kernel
	.section	.text._ZN5aiter22opus_moe_sorting_entryINS_16MoeSortingKernelINS_19MoeSortingProblemExIifLi4ELb1ELb1ELb0ELb1ELi0EEEEENS4_5KargsEEEvT0_,"axG",@progbits,_ZN5aiter22opus_moe_sorting_entryINS_16MoeSortingKernelINS_19MoeSortingProblemExIifLi4ELb1ELb1ELb0ELb1ELi0EEEEENS4_5KargsEEEvT0_,comdat
.Lfunc_end6:
	.size	_ZN5aiter22opus_moe_sorting_entryINS_16MoeSortingKernelINS_19MoeSortingProblemExIifLi4ELb1ELb1ELb0ELb1ELi0EEEEENS4_5KargsEEEvT0_, .Lfunc_end6-_ZN5aiter22opus_moe_sorting_entryINS_16MoeSortingKernelINS_19MoeSortingProblemExIifLi4ELb1ELb1ELb0ELb1ELi0EEEEENS4_5KargsEEEvT0_
                                        ; -- End function
	.section	.AMDGPU.csdata,"",@progbits
; Kernel info:
; codeLenInByte = 3880
; NumSgprs: 42
; NumVgprs: 27
; ScratchSize: 0
; MemoryBound: 0
; FloatMode: 240
; IeeeMode: 1
; LDSByteSize: 0 bytes/workgroup (compile time only)
; SGPRBlocks: 5
; VGPRBlocks: 3
; NumSGPRsForWavesPerEU: 42
; NumVGPRsForWavesPerEU: 27
; Occupancy: 16
; WaveLimiterHint : 1
; COMPUTE_PGM_RSRC2:SCRATCH_EN: 0
; COMPUTE_PGM_RSRC2:USER_SGPR: 15
; COMPUTE_PGM_RSRC2:TRAP_HANDLER: 0
; COMPUTE_PGM_RSRC2:TGID_X_EN: 1
; COMPUTE_PGM_RSRC2:TGID_Y_EN: 0
; COMPUTE_PGM_RSRC2:TGID_Z_EN: 0
; COMPUTE_PGM_RSRC2:TIDIG_COMP_CNT: 0
	.section	.text._ZN5aiter22opus_moe_sorting_entryINS_16MoeSortingKernelINS_19MoeSortingProblemExIifLi2ELb1ELb1ELb0ELb1ELi0EEEEENS4_5KargsEEEvT0_,"axG",@progbits,_ZN5aiter22opus_moe_sorting_entryINS_16MoeSortingKernelINS_19MoeSortingProblemExIifLi2ELb1ELb1ELb0ELb1ELi0EEEEENS4_5KargsEEEvT0_,comdat
	.protected	_ZN5aiter22opus_moe_sorting_entryINS_16MoeSortingKernelINS_19MoeSortingProblemExIifLi2ELb1ELb1ELb0ELb1ELi0EEEEENS4_5KargsEEEvT0_ ; -- Begin function _ZN5aiter22opus_moe_sorting_entryINS_16MoeSortingKernelINS_19MoeSortingProblemExIifLi2ELb1ELb1ELb0ELb1ELi0EEEEENS4_5KargsEEEvT0_
	.globl	_ZN5aiter22opus_moe_sorting_entryINS_16MoeSortingKernelINS_19MoeSortingProblemExIifLi2ELb1ELb1ELb0ELb1ELi0EEEEENS4_5KargsEEEvT0_
	.p2align	8
	.type	_ZN5aiter22opus_moe_sorting_entryINS_16MoeSortingKernelINS_19MoeSortingProblemExIifLi2ELb1ELb1ELb0ELb1ELi0EEEEENS4_5KargsEEEvT0_,@function
_ZN5aiter22opus_moe_sorting_entryINS_16MoeSortingKernelINS_19MoeSortingProblemExIifLi2ELb1ELb1ELb0ELb1ELi0EEEEENS4_5KargsEEEvT0_: ; @_ZN5aiter22opus_moe_sorting_entryINS_16MoeSortingKernelINS_19MoeSortingProblemExIifLi2ELb1ELb1ELb0ELb1ELi0EEEEENS4_5KargsEEEvT0_
; %bb.0:
	s_clause 0x1
	s_load_b256 s[16:23], s[0:1], 0x20
	s_load_b256 s[4:11], s[0:1], 0x40
	s_cmp_eq_u32 s15, 0
	s_cbranch_scc1 .LBB7_7
; %bb.1:
	s_waitcnt lgkmcnt(0)
	s_cmp_eq_u64 s[4:5], 0
	s_cbranch_scc1 .LBB7_6
; %bb.2:
	s_mul_i32 s2, s10, s8
	s_ashr_i32 s3, s11, 31
	s_mul_hi_u32 s12, s2, s11
	s_mul_i32 s3, s2, s3
	s_mul_hi_i32 s10, s10, s8
	s_add_i32 s3, s12, s3
	s_mul_i32 s10, s10, s11
	s_mul_i32 s2, s2, s11
	s_add_i32 s3, s3, s10
	v_mov_b32_e32 v2, 0
	s_ashr_i32 s10, s3, 31
	s_mov_b32 s13, 0
	s_lshr_b32 s10, s10, 28
	s_delay_alu instid0(SALU_CYCLE_1) | instskip(SKIP_2) | instid1(SALU_CYCLE_1)
	s_add_u32 s2, s2, s10
	s_addc_u32 s3, s3, 0
	s_lshl_b32 s10, s15, 8
	v_add3_u32 v1, v0, s10, 0xffffff00
	s_ashr_i64 s[10:11], s[2:3], 4
	s_mov_b32 s3, exec_lo
	s_delay_alu instid0(VALU_DEP_1)
	v_cmpx_gt_i64_e64 s[10:11], v[1:2]
	s_cbranch_execz .LBB7_5
; %bb.3:
	s_load_b32 s2, s[0:1], 0x90
	v_lshlrev_b64 v[3:4], 4, v[1:2]
	v_dual_mov_b32 v6, v2 :: v_dual_mov_b32 v5, v1
	v_mov_b32_e32 v1, v2
	s_delay_alu instid0(VALU_DEP_3) | instskip(NEXT) | instid1(VALU_DEP_4)
	v_add_co_u32 v7, vcc_lo, s4, v3
	v_add_co_ci_u32_e32 v8, vcc_lo, s5, v4, vcc_lo
	v_mov_b32_e32 v3, v2
	v_mov_b32_e32 v4, v2
	s_waitcnt lgkmcnt(0)
	s_lshl_b32 s2, s2, 8
	s_delay_alu instid0(SALU_CYCLE_1) | instskip(NEXT) | instid1(SALU_CYCLE_1)
	s_add_i32 s12, s2, 0xffffff00
	s_lshl_b64 s[4:5], s[12:13], 4
.LBB7_4:                                ; =>This Inner Loop Header: Depth=1
	v_add_co_u32 v5, vcc_lo, v5, s12
	v_add_co_ci_u32_e32 v6, vcc_lo, 0, v6, vcc_lo
	global_store_b128 v[7:8], v[1:4], off
	v_add_co_u32 v7, s2, v7, s4
	v_cmp_le_i64_e32 vcc_lo, s[10:11], v[5:6]
	v_add_co_ci_u32_e64 v8, s2, s5, v8, s2
	s_or_b32 s13, vcc_lo, s13
	s_delay_alu instid0(SALU_CYCLE_1)
	s_and_not1_b32 exec_lo, exec_lo, s13
	s_cbranch_execnz .LBB7_4
.LBB7_5:
	s_or_b32 exec_lo, exec_lo, s3
.LBB7_6:
	s_cbranch_execz .LBB7_8
	s_branch .LBB7_77
.LBB7_7:
.LBB7_8:
	s_clause 0x1
	s_load_b256 s[24:31], s[0:1], 0x64
	s_load_b128 s[12:15], s[0:1], 0x0
	s_waitcnt lgkmcnt(0)
	s_clause 0x1
	s_load_b64 s[10:11], s[0:1], 0x10
	s_load_b64 s[0:1], s[0:1], 0x84
	v_lshrrev_b32_e32 v1, 5, v0
	s_add_i32 s36, s9, 1
	s_mov_b32 s37, exec_lo
	s_delay_alu instid0(VALU_DEP_1) | instskip(SKIP_1) | instid1(SALU_CYCLE_1)
	v_readfirstlane_b32 s35, v1
	s_add_i32 s33, s24, -2
	s_mul_i32 s34, s33, s9
	s_delay_alu instid0(SALU_CYCLE_1)
	v_cmpx_gt_i32_e64 s34, v0
	s_cbranch_execz .LBB7_11
; %bb.9:
	v_dual_mov_b32 v4, 0 :: v_dual_lshlrev_b32 v3, 2, v0
	s_lshl_b32 s2, s9, 3
	s_waitcnt lgkmcnt(0)
	v_mad_u64_u32 v[1:2], null, v0, s0, 0
	s_add_i32 s2, s2, 0
	v_mov_b32_e32 v5, v0
	v_add3_u32 v3, s2, v3, 8
	s_mov_b32 s3, 0
	s_sub_i32 s4, s36, s31
	s_mov_b32 s2, s0
	s_lshl_b32 s31, s4, 2
	s_lshl_b64 s[4:5], s[2:3], 8
	.p2align	6
.LBB7_10:                               ; =>This Inner Loop Header: Depth=1
	v_add_nc_u32_e32 v6, v5, v2
	v_add_nc_u32_e32 v5, 0x100, v5
	v_add_co_u32 v1, vcc_lo, v1, s4
	v_add_co_ci_u32_e32 v2, vcc_lo, s5, v2, vcc_lo
	s_delay_alu instid0(VALU_DEP_4) | instskip(NEXT) | instid1(VALU_DEP_4)
	v_lshrrev_b32_e32 v8, s1, v6
	v_cmp_le_i32_e64 s0, s34, v5
	s_delay_alu instid0(VALU_DEP_2) | instskip(SKIP_1) | instid1(VALU_DEP_3)
	v_mad_u64_u32 v[6:7], null, s31, v8, v[3:4]
	v_add_nc_u32_e32 v3, 0x400, v3
	s_or_b32 s3, s0, s3
	ds_store_b32 v6, v4
	s_and_not1_b32 exec_lo, exec_lo, s3
	s_cbranch_execnz .LBB7_10
.LBB7_11:
	s_or_b32 exec_lo, exec_lo, s37
	s_cmp_gt_i32 s8, 0
	s_mov_b32 s3, 0
	s_cselect_b32 s34, -1, 0
	s_cmp_lt_i32 s8, 1
	s_mul_i32 s31, s28, s33
	s_waitcnt lgkmcnt(0)
	s_waitcnt_vscnt null, 0x0
	s_barrier
	buffer_gl0_inv
	s_cbranch_scc1 .LBB7_19
; %bb.12:
	v_mad_u64_u32 v[1:2], null, v0, s29, 0
	v_cmp_gt_i32_e32 vcc_lo, s31, v0
	v_mov_b32_e32 v4, 0
	s_lshl_b32 s0, s36, 3
	s_mov_b32 s2, s29
	s_add_i32 s37, s0, 0
	s_sub_i32 s29, 0, s28
	s_lshl_b64 s[4:5], s[2:3], 8
	s_mov_b32 s2, 0
	s_branch .LBB7_14
.LBB7_13:                               ;   in Loop: Header=BB7_14 Depth=1
	s_set_inst_prefetch_distance 0x2
	s_or_b32 exec_lo, exec_lo, s38
	s_add_i32 s2, s2, s33
	s_add_i32 s3, s3, s31
	s_cmp_ge_i32 s2, s8
	s_waitcnt lgkmcnt(0)
	s_barrier
	buffer_gl0_inv
	s_cbranch_scc1 .LBB7_19
.LBB7_14:                               ; =>This Loop Header: Depth=1
                                        ;     Child Loop BB7_17 Depth 2
	s_and_saveexec_b32 s38, vcc_lo
	s_cbranch_execz .LBB7_13
; %bb.15:                               ;   in Loop: Header=BB7_14 Depth=1
	v_dual_mov_b32 v6, v2 :: v_dual_mov_b32 v5, v1
	v_mov_b32_e32 v7, v0
	s_mov_b32 s39, 0
	s_set_inst_prefetch_distance 0x1
	s_branch .LBB7_17
	.p2align	6
.LBB7_16:                               ;   in Loop: Header=BB7_17 Depth=2
	s_or_b32 exec_lo, exec_lo, s1
	v_add_nc_u32_e32 v7, 0x100, v7
	v_add_co_u32 v5, s1, v5, s4
	s_delay_alu instid0(VALU_DEP_1) | instskip(NEXT) | instid1(VALU_DEP_3)
	v_add_co_ci_u32_e64 v6, s1, s5, v6, s1
	v_cmp_le_i32_e64 s0, s31, v7
	s_waitcnt vmcnt(48) lgkmcnt(7)
	s_delay_alu instid0(VALU_DEP_1) | instskip(NEXT) | instid1(SALU_CYCLE_1)
	s_or_b32 s39, s0, s39
	s_and_not1_b32 exec_lo, exec_lo, s39
	s_cbranch_execz .LBB7_13
.LBB7_17:                               ;   Parent Loop BB7_14 Depth=1
                                        ; =>  This Inner Loop Header: Depth=2
	s_delay_alu instid0(VALU_DEP_1) | instskip(SKIP_1) | instid1(VALU_DEP_1)
	v_add_nc_u32_e32 v3, v7, v6
	s_mov_b32 s1, exec_lo
	v_lshrrev_b32_e32 v8, s30, v3
	s_delay_alu instid0(VALU_DEP_1) | instskip(NEXT) | instid1(VALU_DEP_1)
	v_add_nc_u32_e32 v3, s2, v8
	v_cmpx_gt_i32_e64 s8, v3
	s_cbranch_execz .LBB7_16
; %bb.18:                               ;   in Loop: Header=BB7_17 Depth=2
	v_add_nc_u32_e32 v3, s3, v7
	s_delay_alu instid0(VALU_DEP_1) | instskip(NEXT) | instid1(VALU_DEP_1)
	v_lshlrev_b64 v[9:10], 2, v[3:4]
	v_add_co_u32 v9, s0, s12, v9
	s_delay_alu instid0(VALU_DEP_1) | instskip(SKIP_3) | instid1(VALU_DEP_2)
	v_add_co_ci_u32_e64 v10, s0, s13, v10, s0
	global_load_b32 v3, v[9:10], off
	v_mul_lo_u32 v9, v8, s36
	v_mul_lo_u32 v8, s29, v8
	v_lshlrev_b32_e32 v9, 2, v9
	s_delay_alu instid0(VALU_DEP_2) | instskip(SKIP_2) | instid1(VALU_DEP_1)
	v_add3_u32 v8, v7, v8, 1
	s_waitcnt vmcnt(0)
	v_lshlrev_b32_e32 v3, 2, v3
	v_add3_u32 v3, s37, v3, v9
	ds_store_b32 v3, v8
	s_branch .LBB7_16
.LBB7_19:
	s_mov_b32 s0, exec_lo
	v_cmpx_eq_u32_e32 0, v0
	s_cbranch_execz .LBB7_21
; %bb.20:
	v_mov_b32_e32 v1, 0
	ds_store_b32 v1, v1
.LBB7_21:
	s_or_b32 exec_lo, exec_lo, s0
	v_and_b32_e32 v7, 7, v0
	v_lshrrev_b32_e32 v8, 3, v0
	v_mbcnt_lo_u32_b32 v11, -1, 0
	s_mov_b32 s5, 0
	s_delay_alu instid0(VALU_DEP_3) | instskip(NEXT) | instid1(VALU_DEP_3)
	v_mul_lo_u32 v1, s36, v7
	v_cmp_gt_i32_e64 s0, s9, v8
	v_lshlrev_b32_e32 v10, 2, v8
	s_delay_alu instid0(VALU_DEP_3) | instskip(NEXT) | instid1(VALU_DEP_3)
	v_lshlrev_b32_e32 v9, 2, v1
	s_and_saveexec_b32 s4, s0
	s_cbranch_execz .LBB7_29
; %bb.22:
	s_cmp_gt_i32 s24, 2
	s_mul_i32 s1, s9, 40
	s_cselect_b32 s24, -1, 0
	s_lshl_b32 s2, s9, 3
	v_dual_mov_b32 v6, v8 :: v_dual_lshlrev_b32 v3, 2, v11
	v_add3_u32 v4, v9, s1, v10
	v_add3_u32 v5, v9, s2, v10
	v_cmp_eq_u32_e64 s1, 0, v7
	s_delay_alu instid0(VALU_DEP_4)
	v_xor_b32_e32 v1, 4, v3
	v_xor_b32_e32 v2, 8, v3
	;; [unrolled: 1-line block ×3, first 2 shown]
	v_add3_u32 v4, v4, 0, 40
	v_add3_u32 v5, v5, 0, 8
	s_lshl_b32 s29, s9, 6
	s_delay_alu instid0(SALU_CYCLE_1)
	s_add_i32 s29, s29, 64
	s_branch .LBB7_24
.LBB7_23:                               ;   in Loop: Header=BB7_24 Depth=1
	s_or_b32 exec_lo, exec_lo, s2
	v_add_nc_u32_e32 v6, 32, v6
	v_add_nc_u32_e32 v4, 0x80, v4
	;; [unrolled: 1-line block ×3, first 2 shown]
	s_delay_alu instid0(VALU_DEP_3) | instskip(SKIP_1) | instid1(SALU_CYCLE_1)
	v_cmp_le_i32_e32 vcc_lo, s9, v6
	s_or_b32 s5, vcc_lo, s5
	s_and_not1_b32 exec_lo, exec_lo, s5
	s_cbranch_execz .LBB7_29
.LBB7_24:                               ; =>This Loop Header: Depth=1
                                        ;     Child Loop BB7_26 Depth 2
	v_mov_b32_e32 v12, 0
	s_and_not1_b32 vcc_lo, exec_lo, s24
	s_cbranch_vccnz .LBB7_27
; %bb.25:                               ;   in Loop: Header=BB7_24 Depth=1
	v_mov_b32_e32 v12, 0
	s_mov_b32 s30, 0
	s_mov_b32 s36, 0
	s_set_inst_prefetch_distance 0x1
	.p2align	6
.LBB7_26:                               ;   Parent Loop BB7_24 Depth=1
                                        ; =>  This Inner Loop Header: Depth=2
	v_add_nc_u32_e32 v13, s30, v5
	v_add_nc_u32_e32 v14, s30, v4
	s_add_i32 s36, s36, 16
	s_add_i32 s30, s30, s29
	s_cmp_lt_i32 s36, s33
	ds_load_b32 v13, v13
	ds_load_b32 v14, v14
	s_waitcnt lgkmcnt(1)
	v_cmp_ne_u32_e32 vcc_lo, 0, v13
	s_waitcnt lgkmcnt(0)
	v_cmp_ne_u32_e64 s2, 0, v14
	v_cndmask_b32_e64 v13, 0, 1, vcc_lo
	s_delay_alu instid0(VALU_DEP_2)
	v_cndmask_b32_e64 v14, 0, 1, s2
	ds_bpermute_b32 v13, v1, v13
	ds_bpermute_b32 v14, v1, v14
	s_waitcnt lgkmcnt(1)
	v_add_co_ci_u32_e64 v15, s3, 0, v13, vcc_lo
	s_waitcnt lgkmcnt(0)
	v_add_co_ci_u32_e64 v16, s3, 0, v14, s2
	ds_bpermute_b32 v15, v2, v15
	ds_bpermute_b32 v16, v2, v16
	s_waitcnt lgkmcnt(1)
	v_add_co_ci_u32_e32 v13, vcc_lo, v15, v13, vcc_lo
	s_waitcnt lgkmcnt(0)
	v_add_co_ci_u32_e64 v14, vcc_lo, v16, v14, s2
	ds_bpermute_b32 v15, v3, v13
	ds_bpermute_b32 v16, v3, v14
	s_waitcnt lgkmcnt(1)
	v_add3_u32 v12, v13, v12, v15
	s_waitcnt lgkmcnt(0)
	s_delay_alu instid0(VALU_DEP_1)
	v_add3_u32 v12, v12, v14, v16
	s_cbranch_scc1 .LBB7_26
.LBB7_27:                               ;   in Loop: Header=BB7_24 Depth=1
	s_set_inst_prefetch_distance 0x2
	s_and_saveexec_b32 s2, s1
	s_cbranch_execz .LBB7_23
; %bb.28:                               ;   in Loop: Header=BB7_24 Depth=1
	v_lshl_add_u32 v13, v6, 2, 0
	ds_store_b32 v13, v12 offset:4
	s_branch .LBB7_23
.LBB7_29:
	s_or_b32 exec_lo, exec_lo, s4
	s_lshl_b32 s4, s9, 2
	v_cmp_gt_i32_e64 s1, s9, v0
	s_add_i32 s24, s4, 0
	s_delay_alu instid0(SALU_CYCLE_1)
	v_dual_mov_b32 v1, 0 :: v_dual_mov_b32 v2, s24
	s_mov_b32 s3, 0
	ds_store_b32 v2, v1 offset:4
	s_and_saveexec_b32 s5, s1
	s_cbranch_execz .LBB7_32
; %bb.30:
	v_dual_mov_b32 v4, v0 :: v_dual_lshlrev_b32 v1, 2, v0
	s_delay_alu instid0(VALU_DEP_1) | instskip(SKIP_1) | instid1(VALU_DEP_1)
	v_add3_u32 v3, s24, v1, 8
	v_add_co_u32 v1, s2, s10, v1
	v_add_co_ci_u32_e64 v2, null, s11, 0, s2
	.p2align	6
.LBB7_31:                               ; =>This Inner Loop Header: Depth=1
	global_load_b32 v5, v[1:2], off
	v_add_nc_u32_e32 v4, 0x100, v4
	v_add_co_u32 v1, vcc_lo, 0x400, v1
	v_add_co_ci_u32_e32 v2, vcc_lo, 0, v2, vcc_lo
	s_delay_alu instid0(VALU_DEP_3) | instskip(NEXT) | instid1(VALU_DEP_1)
	v_cmp_le_i32_e64 s2, s9, v4
	s_or_b32 s3, s2, s3
	s_waitcnt vmcnt(0)
	ds_store_b32 v3, v5
	v_add_nc_u32_e32 v3, 0x400, v3
	s_and_not1_b32 exec_lo, exec_lo, s3
	s_cbranch_execnz .LBB7_31
.LBB7_32:
	s_or_b32 exec_lo, exec_lo, s5
	s_add_i32 s5, s24, 4
	s_cmp_lg_u32 s35, 0
	s_mov_b32 s29, 0
	s_waitcnt lgkmcnt(0)
	s_barrier
	buffer_gl0_inv
	s_cbranch_scc1 .LBB7_43
; %bb.33:
	v_mov_b32_e32 v1, 0
	s_cmp_lt_i32 s9, 1
	s_cbranch_scc1 .LBB7_40
; %bb.34:
	v_lshlrev_b32_e32 v1, 2, v11
	v_cmp_eq_u32_e32 vcc_lo, 0, v11
	v_cmp_lt_u32_e64 s2, 15, v11
	s_add_i32 s30, s25, -1
	s_delay_alu instid0(VALU_DEP_3) | instskip(SKIP_1) | instid1(VALU_DEP_2)
	v_and_b32_e32 v2, 64, v1
	v_add_nc_u32_e32 v3, 0, v1
	v_add_nc_u32_e32 v2, -4, v2
	s_branch .LBB7_36
.LBB7_35:                               ;   in Loop: Header=BB7_36 Depth=1
	s_or_b32 exec_lo, exec_lo, s35
	v_add_nc_u32_e32 v3, 0x80, v3
	s_add_i32 s29, s29, 32
	s_waitcnt vmcnt(48) lgkmcnt(7)
	s_cmp_lt_i32 s29, s9
	s_cbranch_scc0 .LBB7_40
.LBB7_36:                               ; =>This Inner Loop Header: Depth=1
	ds_load_b32 v1, v3 offset:4
	v_add_nc_u32_e32 v4, s4, v3
	s_waitcnt lgkmcnt(1)
	v_cndmask_b32_e64 v6, 0, s29, vcc_lo
	ds_load_b32 v5, v4 offset:8
	v_lshlrev_b32_e32 v6, 2, v6
	s_delay_alu instid0(VALU_DEP_1) | instskip(SKIP_4) | instid1(VALU_DEP_1)
	v_add_nc_u32_e32 v13, 0, v6
	v_add_nc_u32_e32 v6, s5, v6
	ds_load_b32 v6, v6
	s_waitcnt lgkmcnt(2)
	v_add_nc_u32_e32 v1, s30, v1
	v_mul_hi_u32 v12, v1, s26
	s_waitcnt lgkmcnt(1)
	v_cmp_ne_u32_e64 s3, 0, v5
	s_delay_alu instid0(VALU_DEP_2) | instskip(SKIP_3) | instid1(VALU_DEP_1)
	v_add_nc_u32_e32 v1, v1, v12
	ds_load_b32 v12, v13
	v_add_nc_u32_e32 v13, s29, v11
	v_lshrrev_b32_e32 v1, s27, v1
	v_mul_lo_u32 v1, v1, s25
	s_delay_alu instid0(VALU_DEP_1) | instskip(NEXT) | instid1(VALU_DEP_4)
	v_cndmask_b32_e64 v1, 0, v1, s3
	v_cmp_gt_i32_e64 s3, s9, v13
	s_waitcnt lgkmcnt(0)
	s_delay_alu instid0(VALU_DEP_2) | instskip(NEXT) | instid1(VALU_DEP_1)
	v_add_nc_u32_e32 v1, v1, v12
	v_add_nc_u32_dpp v1, v1, v1 row_shr:1 row_mask:0xf bank_mask:0xf bound_ctrl:1
	s_delay_alu instid0(VALU_DEP_1) | instskip(NEXT) | instid1(VALU_DEP_1)
	v_add_nc_u32_dpp v1, v1, v1 row_shr:2 row_mask:0xf bank_mask:0xf bound_ctrl:1
	v_add_nc_u32_dpp v1, v1, v1 row_shr:4 row_mask:0xf bank_mask:0xf bound_ctrl:1
	s_delay_alu instid0(VALU_DEP_1) | instskip(SKIP_3) | instid1(VALU_DEP_1)
	v_add_nc_u32_dpp v1, v1, v1 row_shr:8 row_mask:0xf bank_mask:0xf bound_ctrl:1
	ds_bpermute_b32 v12, v2, v1
	s_waitcnt lgkmcnt(0)
	v_cndmask_b32_e64 v12, 0, v12, s2
	v_add_nc_u32_e32 v1, v1, v12
	s_and_saveexec_b32 s35, s3
	s_cbranch_execz .LBB7_38
; %bb.37:                               ;   in Loop: Header=BB7_36 Depth=1
	ds_store_b32 v3, v1 offset:4
.LBB7_38:                               ;   in Loop: Header=BB7_36 Depth=1
	s_or_b32 exec_lo, exec_lo, s35
	v_add_nc_u32_e32 v5, v5, v6
	s_delay_alu instid0(VALU_DEP_1) | instskip(NEXT) | instid1(VALU_DEP_1)
	v_add_nc_u32_dpp v5, v5, v5 row_shr:1 row_mask:0xf bank_mask:0xf bound_ctrl:1
	v_add_nc_u32_dpp v5, v5, v5 row_shr:2 row_mask:0xf bank_mask:0xf bound_ctrl:1
	s_delay_alu instid0(VALU_DEP_1) | instskip(NEXT) | instid1(VALU_DEP_1)
	v_add_nc_u32_dpp v5, v5, v5 row_shr:4 row_mask:0xf bank_mask:0xf bound_ctrl:1
	v_add_nc_u32_dpp v5, v5, v5 row_shr:8 row_mask:0xf bank_mask:0xf bound_ctrl:1
	ds_bpermute_b32 v6, v2, v5
	s_and_saveexec_b32 s35, s3
	s_cbranch_execz .LBB7_35
; %bb.39:                               ;   in Loop: Header=BB7_36 Depth=1
	s_waitcnt lgkmcnt(0)
	v_cndmask_b32_e64 v6, 0, v6, s2
	s_delay_alu instid0(VALU_DEP_1)
	v_add_nc_u32_e32 v5, v6, v5
	ds_store_b32 v4, v5 offset:8
	s_branch .LBB7_35
.LBB7_40:
	v_add3_u32 v2, v11, s29, 0xffffffe1
	s_mov_b32 s2, exec_lo
	s_delay_alu instid0(VALU_DEP_1)
	v_cmpx_eq_u32_e64 s9, v2
	s_cbranch_execz .LBB7_42
; %bb.41:
	v_dual_mov_b32 v3, 0 :: v_dual_mov_b32 v2, s8
	global_store_b64 v3, v[1:2], s[22:23]
.LBB7_42:
	s_or_b32 exec_lo, exec_lo, s2
.LBB7_43:
	s_cmp_eq_u64 s[6:7], 0
	s_waitcnt lgkmcnt(0)
	s_waitcnt_vscnt null, 0x0
	s_barrier
	buffer_gl0_inv
	s_cbranch_scc1 .LBB7_50
; %bb.44:
	s_mul_i32 s3, s28, s8
	s_mov_b32 s22, exec_lo
	v_cmpx_gt_i32_e64 s3, v0
	s_cbranch_execz .LBB7_49
; %bb.45:
	v_dual_mov_b32 v12, v0 :: v_dual_lshlrev_b32 v3, 2, v0
	s_delay_alu instid0(VALU_DEP_1) | instskip(NEXT) | instid1(VALU_DEP_1)
	v_add_co_u32 v1, s2, s12, v3
	v_add_co_ci_u32_e64 v2, null, s13, 0, s2
	v_add_co_u32 v3, s2, s6, v3
	s_delay_alu instid0(VALU_DEP_1)
	v_add_co_ci_u32_e64 v4, null, s7, 0, s2
	s_mov_b32 s6, 0
	s_set_inst_prefetch_distance 0x1
	s_branch .LBB7_47
	.p2align	6
.LBB7_46:                               ;   in Loop: Header=BB7_47 Depth=1
	s_or_b32 exec_lo, exec_lo, s2
	v_add_nc_u32_e32 v12, 0x100, v12
	v_add_co_u32 v1, vcc_lo, 0x400, v1
	v_add_co_ci_u32_e32 v2, vcc_lo, 0, v2, vcc_lo
	s_waitcnt lgkmcnt(0)
	global_store_b32 v[3:4], v6, off
	v_cmp_le_i32_e32 vcc_lo, s3, v12
	v_add_co_u32 v3, s2, 0x400, v3
	s_delay_alu instid0(VALU_DEP_1) | instskip(SKIP_1) | instid1(SALU_CYCLE_1)
	v_add_co_ci_u32_e64 v4, s2, 0, v4, s2
	s_or_b32 s6, vcc_lo, s6
	s_and_not1_b32 exec_lo, exec_lo, s6
	s_cbranch_execz .LBB7_49
.LBB7_47:                               ; =>This Inner Loop Header: Depth=1
	global_load_b32 v5, v[1:2], off
	s_waitcnt vmcnt(0)
	v_ashrrev_i32_e32 v6, 31, v5
	s_delay_alu instid0(VALU_DEP_1) | instskip(NEXT) | instid1(VALU_DEP_1)
	v_lshlrev_b64 v[13:14], 2, v[5:6]
	v_add_co_u32 v13, vcc_lo, s10, v13
	s_delay_alu instid0(VALU_DEP_2)
	v_add_co_ci_u32_e32 v14, vcc_lo, s11, v14, vcc_lo
	global_load_b32 v6, v[13:14], off
	s_waitcnt vmcnt(0)
	v_cmp_ne_u32_e32 vcc_lo, 0, v6
	v_mov_b32_e32 v6, -1
	s_and_saveexec_b32 s2, vcc_lo
	s_cbranch_execz .LBB7_46
; %bb.48:                               ;   in Loop: Header=BB7_47 Depth=1
	v_lshl_add_u32 v5, v5, 2, s5
	ds_load_b32 v6, v5
	s_branch .LBB7_46
.LBB7_49:
	s_set_inst_prefetch_distance 0x2
	s_or_b32 exec_lo, exec_lo, s22
	s_waitcnt_vscnt null, 0x0
	s_barrier
	buffer_gl0_inv
.LBB7_50:
	s_and_saveexec_b32 s3, s1
	s_cbranch_execz .LBB7_57
; %bb.51:
	v_dual_mov_b32 v2, 0 :: v_dual_mov_b32 v3, v0
	s_mov_b32 s6, 0
	s_branch .LBB7_53
.LBB7_52:                               ;   in Loop: Header=BB7_53 Depth=1
	s_or_b32 exec_lo, exec_lo, s7
	v_add_nc_u32_e32 v3, 0x100, v3
	s_delay_alu instid0(VALU_DEP_1) | instskip(SKIP_1) | instid1(SALU_CYCLE_1)
	v_cmp_le_i32_e32 vcc_lo, s9, v3
	s_or_b32 s6, vcc_lo, s6
	s_and_not1_b32 exec_lo, exec_lo, s6
	s_cbranch_execz .LBB7_57
.LBB7_53:                               ; =>This Loop Header: Depth=1
                                        ;     Child Loop BB7_56 Depth 2
	s_delay_alu instid0(VALU_DEP_1) | instskip(SKIP_1) | instid1(VALU_DEP_1)
	v_lshlrev_b32_e32 v1, 2, v3
	s_mov_b32 s7, exec_lo
	v_add_nc_u32_e32 v4, 0, v1
	v_add_nc_u32_e32 v1, s5, v1
	ds_load_2addr_b32 v[5:6], v4 offset1:1
	s_waitcnt lgkmcnt(2)
	ds_load_b32 v12, v1
	s_waitcnt lgkmcnt(1)
	ds_store_b32 v1, v5
	v_cmpx_ne_u32_e64 v5, v6
	s_cbranch_execz .LBB7_52
; %bb.54:                               ;   in Loop: Header=BB7_53 Depth=1
	v_mov_b32_e32 v4, v2
	v_cmp_lt_i32_e64 s2, v5, v6
	s_delay_alu instid0(VALU_DEP_2) | instskip(NEXT) | instid1(VALU_DEP_1)
	v_lshlrev_b64 v[13:14], 2, v[3:4]
	v_add_co_u32 v13, vcc_lo, s10, v13
	s_delay_alu instid0(VALU_DEP_2) | instskip(SKIP_4) | instid1(SALU_CYCLE_1)
	v_add_co_ci_u32_e32 v14, vcc_lo, s11, v14, vcc_lo
	global_load_b32 v1, v[13:14], off
	s_waitcnt vmcnt(0)
	v_cmp_ne_u32_e32 vcc_lo, 0, v1
	s_and_b32 s2, s2, vcc_lo
	s_and_b32 exec_lo, exec_lo, s2
	s_cbranch_execz .LBB7_52
; %bb.55:                               ;   in Loop: Header=BB7_53 Depth=1
	s_mov_b32 s12, 0
	.p2align	6
.LBB7_56:                               ;   Parent Loop BB7_53 Depth=1
                                        ; =>  This Inner Loop Header: Depth=2
	v_mul_hi_u32 v1, s26, v5
	s_delay_alu instid0(VALU_DEP_1) | instskip(SKIP_1) | instid1(VALU_DEP_2)
	v_add_nc_u32_e32 v1, v5, v1
	v_add_nc_u32_e32 v5, s25, v5
	v_lshrrev_b32_e32 v1, s27, v1
	s_delay_alu instid0(VALU_DEP_2) | instskip(NEXT) | instid1(VALU_DEP_2)
	v_cmp_ge_i32_e32 vcc_lo, v5, v6
	v_lshlrev_b64 v[13:14], 2, v[1:2]
	s_or_b32 s12, vcc_lo, s12
	s_delay_alu instid0(VALU_DEP_1) | instskip(NEXT) | instid1(VALU_DEP_1)
	v_add_co_u32 v13, s2, s20, v13
	v_add_co_ci_u32_e64 v14, s2, s21, v14, s2
	s_waitcnt lgkmcnt(1)
	global_store_b32 v[13:14], v12, off
	s_and_not1_b32 exec_lo, exec_lo, s12
	s_cbranch_execnz .LBB7_56
	s_branch .LBB7_52
.LBB7_57:
	s_or_b32 exec_lo, exec_lo, s3
	s_add_i32 s2, s24, s4
	s_delay_alu instid0(SALU_CYCLE_1)
	v_dual_mov_b32 v1, s24 :: v_dual_mov_b32 v2, s2
	s_waitcnt lgkmcnt(0)
	s_waitcnt_vscnt null, 0x0
	s_barrier
	buffer_gl0_inv
	ds_load_b32 v1, v1
	s_and_not1_b32 vcc_lo, exec_lo, s34
	s_waitcnt lgkmcnt(0)
	ds_store_b32 v2, v1 offset:4
	s_cbranch_vccnz .LBB7_71
; %bb.58:
	s_add_u32 s6, s16, -4
	s_addc_u32 s7, s17, -1
	s_add_u32 s12, s14, -4
	s_addc_u32 s13, s15, -1
	;; [unrolled: 2-line block ×3, first 2 shown]
	s_lshl_b32 s2, s9, 3
	v_and_b32_e32 v1, 8, v11
	v_add3_u32 v2, v9, s2, v10
	v_mul_lo_u32 v3, s28, v7
	v_cmp_gt_i32_e32 vcc_lo, s33, v7
	v_lshl_or_b32 v4, v0, 2, 28
	s_lshl_b32 s22, s9, 5
	v_add3_u32 v5, v2, 0, 8
	v_mov_b32_e32 v2, 0
	v_cmp_eq_u32_e64 s2, 0, v1
	s_mov_b32 s20, 0
	s_lshl_b32 s21, s28, 3
	s_add_i32 s22, s22, 32
	s_branch .LBB7_60
.LBB7_59:                               ;   in Loop: Header=BB7_60 Depth=1
	s_or_b32 exec_lo, exec_lo, s23
	v_add_nc_u32_e32 v3, s31, v3
	s_add_i32 s20, s20, s33
	s_waitcnt lgkmcnt(0)
	s_waitcnt_vscnt null, 0x0
	s_cmp_ge_i32 s20, s8
	s_barrier
	buffer_gl0_inv
	s_cbranch_scc1 .LBB7_71
.LBB7_60:                               ; =>This Loop Header: Depth=1
                                        ;     Child Loop BB7_65 Depth 2
                                        ;       Child Loop BB7_69 Depth 3
	s_and_saveexec_b32 s23, s0
	s_cbranch_execz .LBB7_59
; %bb.61:                               ;   in Loop: Header=BB7_60 Depth=1
	v_dual_mov_b32 v6, v5 :: v_dual_mov_b32 v1, v8
	s_mov_b32 s24, 0
	s_branch .LBB7_65
.LBB7_62:                               ;   in Loop: Header=BB7_65 Depth=2
	s_or_b32 exec_lo, exec_lo, s27
.LBB7_63:                               ;   in Loop: Header=BB7_65 Depth=2
	s_delay_alu instid0(SALU_CYCLE_1)
	s_or_b32 exec_lo, exec_lo, s26
	s_waitcnt lgkmcnt(0)
	ds_store_b32 v9, v10
.LBB7_64:                               ;   in Loop: Header=BB7_65 Depth=2
	s_or_b32 exec_lo, exec_lo, s25
	v_add_nc_u32_e32 v1, 32, v1
	v_add_nc_u32_e32 v6, 0x80, v6
	s_delay_alu instid0(VALU_DEP_2) | instskip(NEXT) | instid1(VALU_DEP_1)
	v_cmp_le_i32_e64 s3, s9, v1
	s_or_b32 s24, s3, s24
	s_delay_alu instid0(SALU_CYCLE_1)
	s_and_not1_b32 exec_lo, exec_lo, s24
	s_cbranch_execz .LBB7_59
.LBB7_65:                               ;   Parent Loop BB7_60 Depth=1
                                        ; =>  This Loop Header: Depth=2
                                        ;       Child Loop BB7_69 Depth 3
	s_delay_alu instid0(VALU_DEP_1) | instskip(SKIP_1) | instid1(VALU_DEP_1)
	v_lshlrev_b64 v[9:10], 2, v[1:2]
	s_mov_b32 s25, exec_lo
	v_add_co_u32 v9, s3, s10, v9
	s_delay_alu instid0(VALU_DEP_1)
	v_add_co_ci_u32_e64 v10, s3, s11, v10, s3
	global_load_b32 v9, v[9:10], off
	s_waitcnt vmcnt(0)
	v_cmpx_ne_u32_e32 0, v9
	s_cbranch_execz .LBB7_64
; %bb.66:                               ;   in Loop: Header=BB7_65 Depth=2
	v_lshl_add_u32 v9, v1, 2, 0
	ds_load_b32 v10, v9
	s_and_saveexec_b32 s26, vcc_lo
	s_cbranch_execz .LBB7_63
; %bb.67:                               ;   in Loop: Header=BB7_65 Depth=2
	v_dual_mov_b32 v11, v6 :: v_dual_mov_b32 v12, v3
	v_mov_b32_e32 v13, v7
	s_mov_b32 s27, 0
	s_branch .LBB7_69
.LBB7_68:                               ;   in Loop: Header=BB7_69 Depth=3
	s_or_b32 exec_lo, exec_lo, s4
	ds_bpermute_b32 v14, v4, v14
	v_add_nc_u32_e32 v13, 8, v13
	v_add_nc_u32_e32 v12, s21, v12
	v_add_nc_u32_e32 v11, s22, v11
	s_delay_alu instid0(VALU_DEP_3) | instskip(NEXT) | instid1(VALU_DEP_1)
	v_cmp_le_i32_e64 s3, s33, v13
	s_or_b32 s27, s3, s27
	s_waitcnt lgkmcnt(0)
	v_add_nc_u32_e32 v10, v14, v10
	s_and_not1_b32 exec_lo, exec_lo, s27
	s_cbranch_execz .LBB7_62
.LBB7_69:                               ;   Parent Loop BB7_60 Depth=1
                                        ;     Parent Loop BB7_65 Depth=2
                                        ; =>    This Inner Loop Header: Depth=3
	ds_load_b32 v15, v11
	s_waitcnt lgkmcnt(0)
	v_cmp_ne_u32_e64 s3, 0, v15
	s_delay_alu instid0(VALU_DEP_1) | instskip(NEXT) | instid1(VALU_DEP_1)
	v_cndmask_b32_e64 v14, 0, 1, s3
	v_mov_b32_dpp v14, v14 row_shr:1 row_mask:0xf bank_mask:0xf bound_ctrl:1
	s_delay_alu instid0(VALU_DEP_1) | instskip(NEXT) | instid1(VALU_DEP_1)
	v_add_co_ci_u32_e64 v16, s4, 0, v14, s3
	v_mov_b32_dpp v16, v16 row_shr:2 row_mask:0xf bank_mask:0xf bound_ctrl:1
	s_delay_alu instid0(VALU_DEP_1) | instskip(NEXT) | instid1(VALU_DEP_1)
	v_add_co_ci_u32_e64 v14, s4, v16, v14, s3
	v_add_nc_u32_dpp v14, v14, v14 row_shr:4 row_mask:0xf bank_mask:0xf bound_ctrl:1
	s_delay_alu instid0(VALU_DEP_1) | instskip(NEXT) | instid1(VALU_DEP_1)
	v_add_nc_u32_dpp v14, v14, v14 row_shr:8 row_mask:0xf bank_mask:0xf bound_ctrl:1
	v_mov_b32_dpp v16, v14 row_share:7 row_mask:0xf bank_mask:0xf bound_ctrl:1
	s_delay_alu instid0(VALU_DEP_1) | instskip(NEXT) | instid1(VALU_DEP_1)
	v_cndmask_b32_e64 v16, v16, 0, s2
	v_sub_nc_u32_e32 v14, v14, v16
	s_and_saveexec_b32 s4, s3
	s_cbranch_execz .LBB7_68
; %bb.70:                               ;   in Loop: Header=BB7_69 Depth=3
	v_add_nc_u32_e32 v16, v12, v15
	v_add_nc_u32_e32 v18, s20, v13
	s_delay_alu instid0(VALU_DEP_2) | instskip(NEXT) | instid1(VALU_DEP_2)
	v_ashrrev_i32_e32 v17, 31, v16
	v_perm_b32 v18, v15, v18, 0x4020100
	s_delay_alu instid0(VALU_DEP_2) | instskip(NEXT) | instid1(VALU_DEP_2)
	v_lshlrev_b64 v[16:17], 2, v[16:17]
	v_add_nc_u32_e32 v20, 0xff000000, v18
	s_delay_alu instid0(VALU_DEP_2) | instskip(NEXT) | instid1(VALU_DEP_1)
	v_add_co_u32 v16, s3, s12, v16
	v_add_co_ci_u32_e64 v17, s3, s13, v17, s3
	global_load_b32 v19, v[16:17], off
	v_add_nc_u32_e32 v16, v14, v10
	s_delay_alu instid0(VALU_DEP_1) | instskip(NEXT) | instid1(VALU_DEP_1)
	v_ashrrev_i32_e32 v17, 31, v16
	v_lshlrev_b64 v[15:16], 2, v[16:17]
	s_delay_alu instid0(VALU_DEP_1) | instskip(NEXT) | instid1(VALU_DEP_1)
	v_add_co_u32 v17, s3, s6, v15
	v_add_co_ci_u32_e64 v18, s3, s7, v16, s3
	v_add_co_u32 v15, s3, s14, v15
	s_delay_alu instid0(VALU_DEP_1)
	v_add_co_ci_u32_e64 v16, s3, s15, v16, s3
	global_store_b32 v[17:18], v20, off
	s_waitcnt vmcnt(0)
	global_store_b32 v[15:16], v19, off
	s_branch .LBB7_68
.LBB7_71:
	s_and_saveexec_b32 s0, s1
	s_cbranch_execz .LBB7_77
; %bb.72:
	v_mov_b32_e32 v6, 0
	s_and_b32 s0, s8, 0xffffff
	s_lshl_b32 s1, s28, 24
	s_add_i32 s5, s5, 4
	s_or_b32 s1, s1, s0
	s_mov_b32 s2, 0
	s_set_inst_prefetch_distance 0x1
	s_branch .LBB7_74
	.p2align	6
.LBB7_73:                               ;   in Loop: Header=BB7_74 Depth=1
	s_or_b32 exec_lo, exec_lo, s3
	v_add_nc_u32_e32 v0, 0x100, v0
	s_delay_alu instid0(VALU_DEP_1) | instskip(SKIP_1) | instid1(SALU_CYCLE_1)
	v_cmp_le_i32_e32 vcc_lo, s9, v0
	s_or_b32 s2, vcc_lo, s2
	s_and_not1_b32 exec_lo, exec_lo, s2
	s_cbranch_execz .LBB7_77
.LBB7_74:                               ; =>This Loop Header: Depth=1
                                        ;     Child Loop BB7_76 Depth 2
	v_lshlrev_b32_e32 v1, 2, v0
	s_mov_b32 s3, exec_lo
	s_delay_alu instid0(VALU_DEP_1)
	v_add_nc_u32_e32 v2, 0, v1
	v_add_nc_u32_e32 v3, s5, v1
	ds_load_b32 v1, v2
	ds_load_b32 v7, v3
	s_waitcnt lgkmcnt(0)
	v_cmpx_lt_i32_e64 v1, v7
	s_cbranch_execz .LBB7_73
; %bb.75:                               ;   in Loop: Header=BB7_74 Depth=1
	v_ashrrev_i32_e32 v2, 31, v1
	s_mov_b32 s4, 0
	s_delay_alu instid0(VALU_DEP_1) | instskip(NEXT) | instid1(VALU_DEP_1)
	v_lshlrev_b64 v[4:5], 2, v[1:2]
	v_add_co_u32 v2, vcc_lo, s16, v4
	s_delay_alu instid0(VALU_DEP_2)
	v_add_co_ci_u32_e32 v3, vcc_lo, s17, v5, vcc_lo
	v_add_co_u32 v4, vcc_lo, s18, v4
	v_add_co_ci_u32_e32 v5, vcc_lo, s19, v5, vcc_lo
	.p2align	6
.LBB7_76:                               ;   Parent Loop BB7_74 Depth=1
                                        ; =>  This Inner Loop Header: Depth=2
	v_dual_mov_b32 v8, s1 :: v_dual_add_nc_u32 v1, 1, v1
	global_store_b32 v[4:5], v6, off
	v_add_co_u32 v4, vcc_lo, v4, 4
	v_add_co_ci_u32_e32 v5, vcc_lo, 0, v5, vcc_lo
	global_store_b32 v[2:3], v8, off
	v_cmp_ge_i32_e32 vcc_lo, v1, v7
	v_add_co_u32 v2, s0, v2, 4
	s_delay_alu instid0(VALU_DEP_1) | instskip(SKIP_1) | instid1(SALU_CYCLE_1)
	v_add_co_ci_u32_e64 v3, s0, 0, v3, s0
	s_or_b32 s4, vcc_lo, s4
	s_and_not1_b32 exec_lo, exec_lo, s4
	s_cbranch_execnz .LBB7_76
	s_branch .LBB7_73
.LBB7_77:
	s_set_inst_prefetch_distance 0x2
	s_nop 0
	s_sendmsg sendmsg(MSG_DEALLOC_VGPRS)
	s_endpgm
	.section	.rodata,"a",@progbits
	.p2align	6, 0x0
	.amdhsa_kernel _ZN5aiter22opus_moe_sorting_entryINS_16MoeSortingKernelINS_19MoeSortingProblemExIifLi2ELb1ELb1ELb0ELb1ELi0EEEEENS4_5KargsEEEvT0_
		.amdhsa_group_segment_fixed_size 0
		.amdhsa_private_segment_fixed_size 0
		.amdhsa_kernarg_size 400
		.amdhsa_user_sgpr_count 15
		.amdhsa_user_sgpr_dispatch_ptr 0
		.amdhsa_user_sgpr_queue_ptr 0
		.amdhsa_user_sgpr_kernarg_segment_ptr 1
		.amdhsa_user_sgpr_dispatch_id 0
		.amdhsa_user_sgpr_private_segment_size 0
		.amdhsa_wavefront_size32 1
		.amdhsa_uses_dynamic_stack 0
		.amdhsa_enable_private_segment 0
		.amdhsa_system_sgpr_workgroup_id_x 1
		.amdhsa_system_sgpr_workgroup_id_y 0
		.amdhsa_system_sgpr_workgroup_id_z 0
		.amdhsa_system_sgpr_workgroup_info 0
		.amdhsa_system_vgpr_workitem_id 0
		.amdhsa_next_free_vgpr 21
		.amdhsa_next_free_sgpr 40
		.amdhsa_reserve_vcc 1
		.amdhsa_float_round_mode_32 0
		.amdhsa_float_round_mode_16_64 0
		.amdhsa_float_denorm_mode_32 3
		.amdhsa_float_denorm_mode_16_64 3
		.amdhsa_dx10_clamp 1
		.amdhsa_ieee_mode 1
		.amdhsa_fp16_overflow 0
		.amdhsa_workgroup_processor_mode 1
		.amdhsa_memory_ordered 1
		.amdhsa_forward_progress 0
		.amdhsa_shared_vgpr_count 0
		.amdhsa_exception_fp_ieee_invalid_op 0
		.amdhsa_exception_fp_denorm_src 0
		.amdhsa_exception_fp_ieee_div_zero 0
		.amdhsa_exception_fp_ieee_overflow 0
		.amdhsa_exception_fp_ieee_underflow 0
		.amdhsa_exception_fp_ieee_inexact 0
		.amdhsa_exception_int_div_zero 0
	.end_amdhsa_kernel
	.section	.text._ZN5aiter22opus_moe_sorting_entryINS_16MoeSortingKernelINS_19MoeSortingProblemExIifLi2ELb1ELb1ELb0ELb1ELi0EEEEENS4_5KargsEEEvT0_,"axG",@progbits,_ZN5aiter22opus_moe_sorting_entryINS_16MoeSortingKernelINS_19MoeSortingProblemExIifLi2ELb1ELb1ELb0ELb1ELi0EEEEENS4_5KargsEEEvT0_,comdat
.Lfunc_end7:
	.size	_ZN5aiter22opus_moe_sorting_entryINS_16MoeSortingKernelINS_19MoeSortingProblemExIifLi2ELb1ELb1ELb0ELb1ELi0EEEEENS4_5KargsEEEvT0_, .Lfunc_end7-_ZN5aiter22opus_moe_sorting_entryINS_16MoeSortingKernelINS_19MoeSortingProblemExIifLi2ELb1ELb1ELb0ELb1ELi0EEEEENS4_5KargsEEEvT0_
                                        ; -- End function
	.section	.AMDGPU.csdata,"",@progbits
; Kernel info:
; codeLenInByte = 3616
; NumSgprs: 42
; NumVgprs: 21
; ScratchSize: 0
; MemoryBound: 0
; FloatMode: 240
; IeeeMode: 1
; LDSByteSize: 0 bytes/workgroup (compile time only)
; SGPRBlocks: 5
; VGPRBlocks: 2
; NumSGPRsForWavesPerEU: 42
; NumVGPRsForWavesPerEU: 21
; Occupancy: 16
; WaveLimiterHint : 1
; COMPUTE_PGM_RSRC2:SCRATCH_EN: 0
; COMPUTE_PGM_RSRC2:USER_SGPR: 15
; COMPUTE_PGM_RSRC2:TRAP_HANDLER: 0
; COMPUTE_PGM_RSRC2:TGID_X_EN: 1
; COMPUTE_PGM_RSRC2:TGID_Y_EN: 0
; COMPUTE_PGM_RSRC2:TGID_Z_EN: 0
; COMPUTE_PGM_RSRC2:TIDIG_COMP_CNT: 0
	.section	.text._ZN5aiter22opus_moe_sorting_entryINS_16MoeSortingKernelINS_19MoeSortingProblemExIifLi1ELb1ELb1ELb0ELb1ELi0EEEEENS4_5KargsEEEvT0_,"axG",@progbits,_ZN5aiter22opus_moe_sorting_entryINS_16MoeSortingKernelINS_19MoeSortingProblemExIifLi1ELb1ELb1ELb0ELb1ELi0EEEEENS4_5KargsEEEvT0_,comdat
	.protected	_ZN5aiter22opus_moe_sorting_entryINS_16MoeSortingKernelINS_19MoeSortingProblemExIifLi1ELb1ELb1ELb0ELb1ELi0EEEEENS4_5KargsEEEvT0_ ; -- Begin function _ZN5aiter22opus_moe_sorting_entryINS_16MoeSortingKernelINS_19MoeSortingProblemExIifLi1ELb1ELb1ELb0ELb1ELi0EEEEENS4_5KargsEEEvT0_
	.globl	_ZN5aiter22opus_moe_sorting_entryINS_16MoeSortingKernelINS_19MoeSortingProblemExIifLi1ELb1ELb1ELb0ELb1ELi0EEEEENS4_5KargsEEEvT0_
	.p2align	8
	.type	_ZN5aiter22opus_moe_sorting_entryINS_16MoeSortingKernelINS_19MoeSortingProblemExIifLi1ELb1ELb1ELb0ELb1ELi0EEEEENS4_5KargsEEEvT0_,@function
_ZN5aiter22opus_moe_sorting_entryINS_16MoeSortingKernelINS_19MoeSortingProblemExIifLi1ELb1ELb1ELb0ELb1ELi0EEEEENS4_5KargsEEEvT0_: ; @_ZN5aiter22opus_moe_sorting_entryINS_16MoeSortingKernelINS_19MoeSortingProblemExIifLi1ELb1ELb1ELb0ELb1ELi0EEEEENS4_5KargsEEEvT0_
; %bb.0:
	s_clause 0x1
	s_load_b256 s[16:23], s[0:1], 0x20
	s_load_b256 s[4:11], s[0:1], 0x40
	s_cmp_eq_u32 s15, 0
	s_cbranch_scc1 .LBB8_7
; %bb.1:
	s_waitcnt lgkmcnt(0)
	s_cmp_eq_u64 s[4:5], 0
	s_cbranch_scc1 .LBB8_6
; %bb.2:
	s_mul_i32 s2, s10, s8
	s_ashr_i32 s3, s11, 31
	s_mul_hi_u32 s12, s2, s11
	s_mul_i32 s3, s2, s3
	s_mul_hi_i32 s10, s10, s8
	s_add_i32 s3, s12, s3
	s_mul_i32 s10, s10, s11
	s_mul_i32 s2, s2, s11
	s_add_i32 s3, s3, s10
	v_mov_b32_e32 v2, 0
	s_ashr_i32 s10, s3, 31
	s_mov_b32 s13, 0
	s_lshr_b32 s10, s10, 28
	s_delay_alu instid0(SALU_CYCLE_1) | instskip(SKIP_2) | instid1(SALU_CYCLE_1)
	s_add_u32 s2, s2, s10
	s_addc_u32 s3, s3, 0
	s_lshl_b32 s10, s15, 8
	v_add3_u32 v1, v0, s10, 0xffffff00
	s_ashr_i64 s[10:11], s[2:3], 4
	s_mov_b32 s3, exec_lo
	s_delay_alu instid0(VALU_DEP_1)
	v_cmpx_gt_i64_e64 s[10:11], v[1:2]
	s_cbranch_execz .LBB8_5
; %bb.3:
	s_load_b32 s2, s[0:1], 0x90
	v_lshlrev_b64 v[3:4], 4, v[1:2]
	v_dual_mov_b32 v6, v2 :: v_dual_mov_b32 v5, v1
	v_mov_b32_e32 v1, v2
	s_delay_alu instid0(VALU_DEP_3) | instskip(NEXT) | instid1(VALU_DEP_4)
	v_add_co_u32 v7, vcc_lo, s4, v3
	v_add_co_ci_u32_e32 v8, vcc_lo, s5, v4, vcc_lo
	v_mov_b32_e32 v3, v2
	v_mov_b32_e32 v4, v2
	s_waitcnt lgkmcnt(0)
	s_lshl_b32 s2, s2, 8
	s_delay_alu instid0(SALU_CYCLE_1) | instskip(NEXT) | instid1(SALU_CYCLE_1)
	s_add_i32 s12, s2, 0xffffff00
	s_lshl_b64 s[4:5], s[12:13], 4
.LBB8_4:                                ; =>This Inner Loop Header: Depth=1
	v_add_co_u32 v5, vcc_lo, v5, s12
	v_add_co_ci_u32_e32 v6, vcc_lo, 0, v6, vcc_lo
	global_store_b128 v[7:8], v[1:4], off
	v_add_co_u32 v7, s2, v7, s4
	v_cmp_le_i64_e32 vcc_lo, s[10:11], v[5:6]
	v_add_co_ci_u32_e64 v8, s2, s5, v8, s2
	s_or_b32 s13, vcc_lo, s13
	s_delay_alu instid0(SALU_CYCLE_1)
	s_and_not1_b32 exec_lo, exec_lo, s13
	s_cbranch_execnz .LBB8_4
.LBB8_5:
	s_or_b32 exec_lo, exec_lo, s3
.LBB8_6:
	s_cbranch_execz .LBB8_8
	s_branch .LBB8_77
.LBB8_7:
.LBB8_8:
	s_clause 0x1
	s_load_b256 s[24:31], s[0:1], 0x64
	s_load_b128 s[12:15], s[0:1], 0x0
	s_waitcnt lgkmcnt(0)
	s_clause 0x1
	s_load_b64 s[10:11], s[0:1], 0x10
	s_load_b64 s[0:1], s[0:1], 0x84
	v_lshrrev_b32_e32 v1, 5, v0
	s_add_i32 s36, s9, 1
	s_mov_b32 s37, exec_lo
	s_delay_alu instid0(VALU_DEP_1) | instskip(SKIP_1) | instid1(SALU_CYCLE_1)
	v_readfirstlane_b32 s35, v1
	s_add_i32 s33, s24, -2
	s_mul_i32 s34, s33, s9
	s_delay_alu instid0(SALU_CYCLE_1)
	v_cmpx_gt_i32_e64 s34, v0
	s_cbranch_execz .LBB8_11
; %bb.9:
	v_dual_mov_b32 v4, 0 :: v_dual_lshlrev_b32 v3, 2, v0
	s_lshl_b32 s2, s9, 3
	s_waitcnt lgkmcnt(0)
	v_mad_u64_u32 v[1:2], null, v0, s0, 0
	s_add_i32 s2, s2, 0
	v_mov_b32_e32 v5, v0
	v_add3_u32 v3, s2, v3, 8
	s_mov_b32 s3, 0
	s_sub_i32 s4, s36, s31
	s_mov_b32 s2, s0
	s_lshl_b32 s31, s4, 2
	s_lshl_b64 s[4:5], s[2:3], 8
	.p2align	6
.LBB8_10:                               ; =>This Inner Loop Header: Depth=1
	v_add_nc_u32_e32 v6, v5, v2
	v_add_nc_u32_e32 v5, 0x100, v5
	v_add_co_u32 v1, vcc_lo, v1, s4
	v_add_co_ci_u32_e32 v2, vcc_lo, s5, v2, vcc_lo
	s_delay_alu instid0(VALU_DEP_4) | instskip(NEXT) | instid1(VALU_DEP_4)
	v_lshrrev_b32_e32 v8, s1, v6
	v_cmp_le_i32_e64 s0, s34, v5
	s_delay_alu instid0(VALU_DEP_2) | instskip(SKIP_1) | instid1(VALU_DEP_3)
	v_mad_u64_u32 v[6:7], null, s31, v8, v[3:4]
	v_add_nc_u32_e32 v3, 0x400, v3
	s_or_b32 s3, s0, s3
	ds_store_b32 v6, v4
	s_and_not1_b32 exec_lo, exec_lo, s3
	s_cbranch_execnz .LBB8_10
.LBB8_11:
	s_or_b32 exec_lo, exec_lo, s37
	s_cmp_gt_i32 s8, 0
	s_mov_b32 s3, 0
	s_cselect_b32 s34, -1, 0
	s_cmp_lt_i32 s8, 1
	s_mul_i32 s31, s28, s33
	s_waitcnt lgkmcnt(0)
	s_waitcnt_vscnt null, 0x0
	s_barrier
	buffer_gl0_inv
	s_cbranch_scc1 .LBB8_19
; %bb.12:
	v_mad_u64_u32 v[1:2], null, v0, s29, 0
	v_cmp_gt_i32_e32 vcc_lo, s31, v0
	v_mov_b32_e32 v4, 0
	s_lshl_b32 s0, s36, 3
	s_mov_b32 s2, s29
	s_add_i32 s37, s0, 0
	s_sub_i32 s29, 0, s28
	s_lshl_b64 s[4:5], s[2:3], 8
	s_mov_b32 s2, 0
	s_branch .LBB8_14
.LBB8_13:                               ;   in Loop: Header=BB8_14 Depth=1
	s_set_inst_prefetch_distance 0x2
	s_or_b32 exec_lo, exec_lo, s38
	s_add_i32 s2, s2, s33
	s_add_i32 s3, s3, s31
	s_cmp_ge_i32 s2, s8
	s_waitcnt lgkmcnt(0)
	s_barrier
	buffer_gl0_inv
	s_cbranch_scc1 .LBB8_19
.LBB8_14:                               ; =>This Loop Header: Depth=1
                                        ;     Child Loop BB8_17 Depth 2
	s_and_saveexec_b32 s38, vcc_lo
	s_cbranch_execz .LBB8_13
; %bb.15:                               ;   in Loop: Header=BB8_14 Depth=1
	v_dual_mov_b32 v6, v2 :: v_dual_mov_b32 v5, v1
	v_mov_b32_e32 v7, v0
	s_mov_b32 s39, 0
	s_set_inst_prefetch_distance 0x1
	s_branch .LBB8_17
	.p2align	6
.LBB8_16:                               ;   in Loop: Header=BB8_17 Depth=2
	s_or_b32 exec_lo, exec_lo, s1
	v_add_nc_u32_e32 v7, 0x100, v7
	v_add_co_u32 v5, s1, v5, s4
	s_delay_alu instid0(VALU_DEP_1) | instskip(NEXT) | instid1(VALU_DEP_3)
	v_add_co_ci_u32_e64 v6, s1, s5, v6, s1
	v_cmp_le_i32_e64 s0, s31, v7
	s_waitcnt vmcnt(48) lgkmcnt(7)
	s_delay_alu instid0(VALU_DEP_1) | instskip(NEXT) | instid1(SALU_CYCLE_1)
	s_or_b32 s39, s0, s39
	s_and_not1_b32 exec_lo, exec_lo, s39
	s_cbranch_execz .LBB8_13
.LBB8_17:                               ;   Parent Loop BB8_14 Depth=1
                                        ; =>  This Inner Loop Header: Depth=2
	s_delay_alu instid0(VALU_DEP_1) | instskip(SKIP_1) | instid1(VALU_DEP_1)
	v_add_nc_u32_e32 v3, v7, v6
	s_mov_b32 s1, exec_lo
	v_lshrrev_b32_e32 v8, s30, v3
	s_delay_alu instid0(VALU_DEP_1) | instskip(NEXT) | instid1(VALU_DEP_1)
	v_add_nc_u32_e32 v3, s2, v8
	v_cmpx_gt_i32_e64 s8, v3
	s_cbranch_execz .LBB8_16
; %bb.18:                               ;   in Loop: Header=BB8_17 Depth=2
	v_add_nc_u32_e32 v3, s3, v7
	s_delay_alu instid0(VALU_DEP_1) | instskip(NEXT) | instid1(VALU_DEP_1)
	v_lshlrev_b64 v[9:10], 2, v[3:4]
	v_add_co_u32 v9, s0, s12, v9
	s_delay_alu instid0(VALU_DEP_1) | instskip(SKIP_3) | instid1(VALU_DEP_2)
	v_add_co_ci_u32_e64 v10, s0, s13, v10, s0
	global_load_b32 v3, v[9:10], off
	v_mul_lo_u32 v9, v8, s36
	v_mul_lo_u32 v8, s29, v8
	v_lshlrev_b32_e32 v9, 2, v9
	s_delay_alu instid0(VALU_DEP_2) | instskip(SKIP_2) | instid1(VALU_DEP_1)
	v_add3_u32 v8, v7, v8, 1
	s_waitcnt vmcnt(0)
	v_lshlrev_b32_e32 v3, 2, v3
	v_add3_u32 v3, s37, v3, v9
	ds_store_b32 v3, v8
	s_branch .LBB8_16
.LBB8_19:
	s_mov_b32 s0, exec_lo
	v_cmpx_eq_u32_e32 0, v0
	s_cbranch_execz .LBB8_21
; %bb.20:
	v_mov_b32_e32 v1, 0
	ds_store_b32 v1, v1
.LBB8_21:
	s_or_b32 exec_lo, exec_lo, s0
	v_and_b32_e32 v7, 7, v0
	v_lshrrev_b32_e32 v8, 3, v0
	v_mbcnt_lo_u32_b32 v11, -1, 0
	s_mov_b32 s4, 0
	s_delay_alu instid0(VALU_DEP_3) | instskip(NEXT) | instid1(VALU_DEP_3)
	v_mul_lo_u32 v1, s36, v7
	v_cmp_gt_i32_e64 s0, s9, v8
	v_lshlrev_b32_e32 v10, 2, v8
	s_delay_alu instid0(VALU_DEP_3) | instskip(NEXT) | instid1(VALU_DEP_3)
	v_lshlrev_b32_e32 v9, 2, v1
	s_and_saveexec_b32 s3, s0
	s_cbranch_execz .LBB8_29
; %bb.22:
	s_cmp_gt_i32 s24, 2
	v_lshlrev_b32_e32 v3, 2, v11
	s_cselect_b32 s5, -1, 0
	s_lshl_b32 s1, s9, 3
	v_mov_b32_e32 v5, v8
	v_add3_u32 v4, v9, s1, v10
	v_cmp_eq_u32_e64 s1, 0, v7
	v_xor_b32_e32 v1, 4, v3
	v_xor_b32_e32 v2, 8, v3
	;; [unrolled: 1-line block ×3, first 2 shown]
	v_add3_u32 v4, v4, 0, 8
	s_lshl_b32 s24, s9, 5
	s_delay_alu instid0(SALU_CYCLE_1)
	s_add_i32 s24, s24, 32
	s_set_inst_prefetch_distance 0x1
	s_branch .LBB8_24
	.p2align	6
.LBB8_23:                               ;   in Loop: Header=BB8_24 Depth=1
	s_or_b32 exec_lo, exec_lo, s2
	v_add_nc_u32_e32 v5, 32, v5
	v_add_nc_u32_e32 v4, 0x80, v4
	s_delay_alu instid0(VALU_DEP_2) | instskip(SKIP_1) | instid1(SALU_CYCLE_1)
	v_cmp_le_i32_e32 vcc_lo, s9, v5
	s_or_b32 s4, vcc_lo, s4
	s_and_not1_b32 exec_lo, exec_lo, s4
	s_cbranch_execz .LBB8_29
.LBB8_24:                               ; =>This Loop Header: Depth=1
                                        ;     Child Loop BB8_26 Depth 2
	v_mov_b32_e32 v6, 0
	s_and_not1_b32 vcc_lo, exec_lo, s5
	s_cbranch_vccnz .LBB8_27
; %bb.25:                               ;   in Loop: Header=BB8_24 Depth=1
	v_mov_b32_e32 v6, 0
	v_mov_b32_e32 v12, v4
	s_mov_b32 s29, 0
	.p2align	6
.LBB8_26:                               ;   Parent Loop BB8_24 Depth=1
                                        ; =>  This Inner Loop Header: Depth=2
	ds_load_b32 v13, v12
	v_add_nc_u32_e32 v12, s24, v12
	s_add_i32 s29, s29, 8
	s_delay_alu instid0(SALU_CYCLE_1)
	s_cmp_ge_i32 s29, s33
	s_waitcnt lgkmcnt(0)
	v_cmp_ne_u32_e32 vcc_lo, 0, v13
	v_cndmask_b32_e64 v13, 0, 1, vcc_lo
	ds_bpermute_b32 v13, v1, v13
	s_waitcnt lgkmcnt(0)
	v_add_co_ci_u32_e64 v14, s2, 0, v13, vcc_lo
	ds_bpermute_b32 v14, v2, v14
	s_waitcnt lgkmcnt(0)
	v_add_co_ci_u32_e32 v13, vcc_lo, v14, v13, vcc_lo
	ds_bpermute_b32 v14, v3, v13
	s_waitcnt lgkmcnt(0)
	v_add3_u32 v6, v14, v6, v13
	s_cbranch_scc0 .LBB8_26
.LBB8_27:                               ;   in Loop: Header=BB8_24 Depth=1
	s_and_saveexec_b32 s2, s1
	s_cbranch_execz .LBB8_23
; %bb.28:                               ;   in Loop: Header=BB8_24 Depth=1
	v_lshl_add_u32 v12, v5, 2, 0
	ds_store_b32 v12, v6 offset:4
	s_branch .LBB8_23
.LBB8_29:
	s_set_inst_prefetch_distance 0x2
	s_or_b32 exec_lo, exec_lo, s3
	s_lshl_b32 s4, s9, 2
	v_cmp_gt_i32_e64 s1, s9, v0
	s_add_i32 s24, s4, 0
	s_delay_alu instid0(SALU_CYCLE_1)
	v_dual_mov_b32 v1, 0 :: v_dual_mov_b32 v2, s24
	s_mov_b32 s3, 0
	ds_store_b32 v2, v1 offset:4
	s_and_saveexec_b32 s5, s1
	s_cbranch_execz .LBB8_32
; %bb.30:
	v_dual_mov_b32 v4, v0 :: v_dual_lshlrev_b32 v1, 2, v0
	s_delay_alu instid0(VALU_DEP_1) | instskip(SKIP_1) | instid1(VALU_DEP_1)
	v_add3_u32 v3, s24, v1, 8
	v_add_co_u32 v1, s2, s10, v1
	v_add_co_ci_u32_e64 v2, null, s11, 0, s2
	.p2align	6
.LBB8_31:                               ; =>This Inner Loop Header: Depth=1
	global_load_b32 v5, v[1:2], off
	v_add_nc_u32_e32 v4, 0x100, v4
	v_add_co_u32 v1, vcc_lo, 0x400, v1
	v_add_co_ci_u32_e32 v2, vcc_lo, 0, v2, vcc_lo
	s_delay_alu instid0(VALU_DEP_3) | instskip(NEXT) | instid1(VALU_DEP_1)
	v_cmp_le_i32_e64 s2, s9, v4
	s_or_b32 s3, s2, s3
	s_waitcnt vmcnt(0)
	ds_store_b32 v3, v5
	v_add_nc_u32_e32 v3, 0x400, v3
	s_and_not1_b32 exec_lo, exec_lo, s3
	s_cbranch_execnz .LBB8_31
.LBB8_32:
	s_or_b32 exec_lo, exec_lo, s5
	s_add_i32 s5, s24, 4
	s_cmp_lg_u32 s35, 0
	s_mov_b32 s29, 0
	s_waitcnt lgkmcnt(0)
	s_barrier
	buffer_gl0_inv
	s_cbranch_scc1 .LBB8_43
; %bb.33:
	v_mov_b32_e32 v1, 0
	s_cmp_lt_i32 s9, 1
	s_cbranch_scc1 .LBB8_40
; %bb.34:
	v_lshlrev_b32_e32 v1, 2, v11
	v_cmp_eq_u32_e32 vcc_lo, 0, v11
	v_cmp_lt_u32_e64 s2, 15, v11
	s_add_i32 s30, s25, -1
	s_delay_alu instid0(VALU_DEP_3) | instskip(SKIP_1) | instid1(VALU_DEP_2)
	v_and_b32_e32 v2, 64, v1
	v_add_nc_u32_e32 v3, 0, v1
	v_add_nc_u32_e32 v2, -4, v2
	s_branch .LBB8_36
.LBB8_35:                               ;   in Loop: Header=BB8_36 Depth=1
	s_or_b32 exec_lo, exec_lo, s35
	v_add_nc_u32_e32 v3, 0x80, v3
	s_add_i32 s29, s29, 32
	s_waitcnt vmcnt(48) lgkmcnt(7)
	s_cmp_lt_i32 s29, s9
	s_cbranch_scc0 .LBB8_40
.LBB8_36:                               ; =>This Inner Loop Header: Depth=1
	ds_load_b32 v1, v3 offset:4
	v_add_nc_u32_e32 v4, s4, v3
	s_waitcnt lgkmcnt(1)
	v_cndmask_b32_e64 v6, 0, s29, vcc_lo
	ds_load_b32 v5, v4 offset:8
	v_lshlrev_b32_e32 v6, 2, v6
	s_delay_alu instid0(VALU_DEP_1) | instskip(SKIP_4) | instid1(VALU_DEP_1)
	v_add_nc_u32_e32 v13, 0, v6
	v_add_nc_u32_e32 v6, s5, v6
	ds_load_b32 v6, v6
	s_waitcnt lgkmcnt(2)
	v_add_nc_u32_e32 v1, s30, v1
	v_mul_hi_u32 v12, v1, s26
	s_waitcnt lgkmcnt(1)
	v_cmp_ne_u32_e64 s3, 0, v5
	s_delay_alu instid0(VALU_DEP_2) | instskip(SKIP_3) | instid1(VALU_DEP_1)
	v_add_nc_u32_e32 v1, v1, v12
	ds_load_b32 v12, v13
	v_add_nc_u32_e32 v13, s29, v11
	v_lshrrev_b32_e32 v1, s27, v1
	v_mul_lo_u32 v1, v1, s25
	s_delay_alu instid0(VALU_DEP_1) | instskip(NEXT) | instid1(VALU_DEP_4)
	v_cndmask_b32_e64 v1, 0, v1, s3
	v_cmp_gt_i32_e64 s3, s9, v13
	s_waitcnt lgkmcnt(0)
	s_delay_alu instid0(VALU_DEP_2) | instskip(NEXT) | instid1(VALU_DEP_1)
	v_add_nc_u32_e32 v1, v1, v12
	v_add_nc_u32_dpp v1, v1, v1 row_shr:1 row_mask:0xf bank_mask:0xf bound_ctrl:1
	s_delay_alu instid0(VALU_DEP_1) | instskip(NEXT) | instid1(VALU_DEP_1)
	v_add_nc_u32_dpp v1, v1, v1 row_shr:2 row_mask:0xf bank_mask:0xf bound_ctrl:1
	v_add_nc_u32_dpp v1, v1, v1 row_shr:4 row_mask:0xf bank_mask:0xf bound_ctrl:1
	s_delay_alu instid0(VALU_DEP_1) | instskip(SKIP_3) | instid1(VALU_DEP_1)
	v_add_nc_u32_dpp v1, v1, v1 row_shr:8 row_mask:0xf bank_mask:0xf bound_ctrl:1
	ds_bpermute_b32 v12, v2, v1
	s_waitcnt lgkmcnt(0)
	v_cndmask_b32_e64 v12, 0, v12, s2
	v_add_nc_u32_e32 v1, v1, v12
	s_and_saveexec_b32 s35, s3
	s_cbranch_execz .LBB8_38
; %bb.37:                               ;   in Loop: Header=BB8_36 Depth=1
	ds_store_b32 v3, v1 offset:4
.LBB8_38:                               ;   in Loop: Header=BB8_36 Depth=1
	s_or_b32 exec_lo, exec_lo, s35
	v_add_nc_u32_e32 v5, v5, v6
	s_delay_alu instid0(VALU_DEP_1) | instskip(NEXT) | instid1(VALU_DEP_1)
	v_add_nc_u32_dpp v5, v5, v5 row_shr:1 row_mask:0xf bank_mask:0xf bound_ctrl:1
	v_add_nc_u32_dpp v5, v5, v5 row_shr:2 row_mask:0xf bank_mask:0xf bound_ctrl:1
	s_delay_alu instid0(VALU_DEP_1) | instskip(NEXT) | instid1(VALU_DEP_1)
	v_add_nc_u32_dpp v5, v5, v5 row_shr:4 row_mask:0xf bank_mask:0xf bound_ctrl:1
	v_add_nc_u32_dpp v5, v5, v5 row_shr:8 row_mask:0xf bank_mask:0xf bound_ctrl:1
	ds_bpermute_b32 v6, v2, v5
	s_and_saveexec_b32 s35, s3
	s_cbranch_execz .LBB8_35
; %bb.39:                               ;   in Loop: Header=BB8_36 Depth=1
	s_waitcnt lgkmcnt(0)
	v_cndmask_b32_e64 v6, 0, v6, s2
	s_delay_alu instid0(VALU_DEP_1)
	v_add_nc_u32_e32 v5, v6, v5
	ds_store_b32 v4, v5 offset:8
	s_branch .LBB8_35
.LBB8_40:
	v_add3_u32 v2, v11, s29, 0xffffffe1
	s_mov_b32 s2, exec_lo
	s_delay_alu instid0(VALU_DEP_1)
	v_cmpx_eq_u32_e64 s9, v2
	s_cbranch_execz .LBB8_42
; %bb.41:
	v_dual_mov_b32 v3, 0 :: v_dual_mov_b32 v2, s8
	global_store_b64 v3, v[1:2], s[22:23]
.LBB8_42:
	s_or_b32 exec_lo, exec_lo, s2
.LBB8_43:
	s_cmp_eq_u64 s[6:7], 0
	s_waitcnt lgkmcnt(0)
	s_waitcnt_vscnt null, 0x0
	s_barrier
	buffer_gl0_inv
	s_cbranch_scc1 .LBB8_50
; %bb.44:
	s_mul_i32 s3, s28, s8
	s_mov_b32 s22, exec_lo
	v_cmpx_gt_i32_e64 s3, v0
	s_cbranch_execz .LBB8_49
; %bb.45:
	v_dual_mov_b32 v12, v0 :: v_dual_lshlrev_b32 v3, 2, v0
	s_delay_alu instid0(VALU_DEP_1) | instskip(NEXT) | instid1(VALU_DEP_1)
	v_add_co_u32 v1, s2, s12, v3
	v_add_co_ci_u32_e64 v2, null, s13, 0, s2
	v_add_co_u32 v3, s2, s6, v3
	s_delay_alu instid0(VALU_DEP_1)
	v_add_co_ci_u32_e64 v4, null, s7, 0, s2
	s_mov_b32 s6, 0
	s_set_inst_prefetch_distance 0x1
	s_branch .LBB8_47
	.p2align	6
.LBB8_46:                               ;   in Loop: Header=BB8_47 Depth=1
	s_or_b32 exec_lo, exec_lo, s2
	v_add_nc_u32_e32 v12, 0x100, v12
	v_add_co_u32 v1, vcc_lo, 0x400, v1
	v_add_co_ci_u32_e32 v2, vcc_lo, 0, v2, vcc_lo
	s_waitcnt lgkmcnt(0)
	global_store_b32 v[3:4], v6, off
	v_cmp_le_i32_e32 vcc_lo, s3, v12
	v_add_co_u32 v3, s2, 0x400, v3
	s_delay_alu instid0(VALU_DEP_1) | instskip(SKIP_1) | instid1(SALU_CYCLE_1)
	v_add_co_ci_u32_e64 v4, s2, 0, v4, s2
	s_or_b32 s6, vcc_lo, s6
	s_and_not1_b32 exec_lo, exec_lo, s6
	s_cbranch_execz .LBB8_49
.LBB8_47:                               ; =>This Inner Loop Header: Depth=1
	global_load_b32 v5, v[1:2], off
	s_waitcnt vmcnt(0)
	v_ashrrev_i32_e32 v6, 31, v5
	s_delay_alu instid0(VALU_DEP_1) | instskip(NEXT) | instid1(VALU_DEP_1)
	v_lshlrev_b64 v[13:14], 2, v[5:6]
	v_add_co_u32 v13, vcc_lo, s10, v13
	s_delay_alu instid0(VALU_DEP_2)
	v_add_co_ci_u32_e32 v14, vcc_lo, s11, v14, vcc_lo
	global_load_b32 v6, v[13:14], off
	s_waitcnt vmcnt(0)
	v_cmp_ne_u32_e32 vcc_lo, 0, v6
	v_mov_b32_e32 v6, -1
	s_and_saveexec_b32 s2, vcc_lo
	s_cbranch_execz .LBB8_46
; %bb.48:                               ;   in Loop: Header=BB8_47 Depth=1
	v_lshl_add_u32 v5, v5, 2, s5
	ds_load_b32 v6, v5
	s_branch .LBB8_46
.LBB8_49:
	s_set_inst_prefetch_distance 0x2
	s_or_b32 exec_lo, exec_lo, s22
	s_waitcnt_vscnt null, 0x0
	s_barrier
	buffer_gl0_inv
.LBB8_50:
	s_and_saveexec_b32 s3, s1
	s_cbranch_execz .LBB8_57
; %bb.51:
	v_dual_mov_b32 v2, 0 :: v_dual_mov_b32 v3, v0
	s_mov_b32 s6, 0
	s_branch .LBB8_53
.LBB8_52:                               ;   in Loop: Header=BB8_53 Depth=1
	s_or_b32 exec_lo, exec_lo, s7
	v_add_nc_u32_e32 v3, 0x100, v3
	s_delay_alu instid0(VALU_DEP_1) | instskip(SKIP_1) | instid1(SALU_CYCLE_1)
	v_cmp_le_i32_e32 vcc_lo, s9, v3
	s_or_b32 s6, vcc_lo, s6
	s_and_not1_b32 exec_lo, exec_lo, s6
	s_cbranch_execz .LBB8_57
.LBB8_53:                               ; =>This Loop Header: Depth=1
                                        ;     Child Loop BB8_56 Depth 2
	s_delay_alu instid0(VALU_DEP_1) | instskip(SKIP_1) | instid1(VALU_DEP_1)
	v_lshlrev_b32_e32 v1, 2, v3
	s_mov_b32 s7, exec_lo
	v_add_nc_u32_e32 v4, 0, v1
	v_add_nc_u32_e32 v1, s5, v1
	ds_load_2addr_b32 v[5:6], v4 offset1:1
	s_waitcnt lgkmcnt(2)
	ds_load_b32 v12, v1
	s_waitcnt lgkmcnt(1)
	ds_store_b32 v1, v5
	v_cmpx_ne_u32_e64 v5, v6
	s_cbranch_execz .LBB8_52
; %bb.54:                               ;   in Loop: Header=BB8_53 Depth=1
	v_mov_b32_e32 v4, v2
	v_cmp_lt_i32_e64 s2, v5, v6
	s_delay_alu instid0(VALU_DEP_2) | instskip(NEXT) | instid1(VALU_DEP_1)
	v_lshlrev_b64 v[13:14], 2, v[3:4]
	v_add_co_u32 v13, vcc_lo, s10, v13
	s_delay_alu instid0(VALU_DEP_2) | instskip(SKIP_4) | instid1(SALU_CYCLE_1)
	v_add_co_ci_u32_e32 v14, vcc_lo, s11, v14, vcc_lo
	global_load_b32 v1, v[13:14], off
	s_waitcnt vmcnt(0)
	v_cmp_ne_u32_e32 vcc_lo, 0, v1
	s_and_b32 s2, s2, vcc_lo
	s_and_b32 exec_lo, exec_lo, s2
	s_cbranch_execz .LBB8_52
; %bb.55:                               ;   in Loop: Header=BB8_53 Depth=1
	s_mov_b32 s12, 0
	.p2align	6
.LBB8_56:                               ;   Parent Loop BB8_53 Depth=1
                                        ; =>  This Inner Loop Header: Depth=2
	v_mul_hi_u32 v1, s26, v5
	s_delay_alu instid0(VALU_DEP_1) | instskip(SKIP_1) | instid1(VALU_DEP_2)
	v_add_nc_u32_e32 v1, v5, v1
	v_add_nc_u32_e32 v5, s25, v5
	v_lshrrev_b32_e32 v1, s27, v1
	s_delay_alu instid0(VALU_DEP_2) | instskip(NEXT) | instid1(VALU_DEP_2)
	v_cmp_ge_i32_e32 vcc_lo, v5, v6
	v_lshlrev_b64 v[13:14], 2, v[1:2]
	s_or_b32 s12, vcc_lo, s12
	s_delay_alu instid0(VALU_DEP_1) | instskip(NEXT) | instid1(VALU_DEP_1)
	v_add_co_u32 v13, s2, s20, v13
	v_add_co_ci_u32_e64 v14, s2, s21, v14, s2
	s_waitcnt lgkmcnt(1)
	global_store_b32 v[13:14], v12, off
	s_and_not1_b32 exec_lo, exec_lo, s12
	s_cbranch_execnz .LBB8_56
	s_branch .LBB8_52
.LBB8_57:
	s_or_b32 exec_lo, exec_lo, s3
	s_add_i32 s2, s24, s4
	s_delay_alu instid0(SALU_CYCLE_1)
	v_dual_mov_b32 v1, s24 :: v_dual_mov_b32 v2, s2
	s_waitcnt lgkmcnt(0)
	s_waitcnt_vscnt null, 0x0
	s_barrier
	buffer_gl0_inv
	ds_load_b32 v1, v1
	s_and_not1_b32 vcc_lo, exec_lo, s34
	s_waitcnt lgkmcnt(0)
	ds_store_b32 v2, v1 offset:4
	s_cbranch_vccnz .LBB8_71
; %bb.58:
	s_add_u32 s6, s16, -4
	s_addc_u32 s7, s17, -1
	s_add_u32 s12, s14, -4
	s_addc_u32 s13, s15, -1
	;; [unrolled: 2-line block ×3, first 2 shown]
	s_lshl_b32 s2, s9, 3
	v_and_b32_e32 v1, 8, v11
	v_add3_u32 v2, v9, s2, v10
	v_mul_lo_u32 v3, s28, v7
	v_cmp_gt_i32_e32 vcc_lo, s33, v7
	v_lshl_or_b32 v4, v0, 2, 28
	s_lshl_b32 s22, s9, 5
	v_add3_u32 v5, v2, 0, 8
	v_mov_b32_e32 v2, 0
	v_cmp_eq_u32_e64 s2, 0, v1
	s_mov_b32 s20, 0
	s_lshl_b32 s21, s28, 3
	s_add_i32 s22, s22, 32
	s_branch .LBB8_60
.LBB8_59:                               ;   in Loop: Header=BB8_60 Depth=1
	s_or_b32 exec_lo, exec_lo, s23
	v_add_nc_u32_e32 v3, s31, v3
	s_add_i32 s20, s20, s33
	s_waitcnt lgkmcnt(0)
	s_waitcnt_vscnt null, 0x0
	s_cmp_ge_i32 s20, s8
	s_barrier
	buffer_gl0_inv
	s_cbranch_scc1 .LBB8_71
.LBB8_60:                               ; =>This Loop Header: Depth=1
                                        ;     Child Loop BB8_65 Depth 2
                                        ;       Child Loop BB8_69 Depth 3
	s_and_saveexec_b32 s23, s0
	s_cbranch_execz .LBB8_59
; %bb.61:                               ;   in Loop: Header=BB8_60 Depth=1
	v_dual_mov_b32 v6, v5 :: v_dual_mov_b32 v1, v8
	s_mov_b32 s24, 0
	s_branch .LBB8_65
.LBB8_62:                               ;   in Loop: Header=BB8_65 Depth=2
	s_or_b32 exec_lo, exec_lo, s27
.LBB8_63:                               ;   in Loop: Header=BB8_65 Depth=2
	s_delay_alu instid0(SALU_CYCLE_1)
	s_or_b32 exec_lo, exec_lo, s26
	s_waitcnt lgkmcnt(0)
	ds_store_b32 v9, v10
.LBB8_64:                               ;   in Loop: Header=BB8_65 Depth=2
	s_or_b32 exec_lo, exec_lo, s25
	v_add_nc_u32_e32 v1, 32, v1
	v_add_nc_u32_e32 v6, 0x80, v6
	s_delay_alu instid0(VALU_DEP_2) | instskip(NEXT) | instid1(VALU_DEP_1)
	v_cmp_le_i32_e64 s3, s9, v1
	s_or_b32 s24, s3, s24
	s_delay_alu instid0(SALU_CYCLE_1)
	s_and_not1_b32 exec_lo, exec_lo, s24
	s_cbranch_execz .LBB8_59
.LBB8_65:                               ;   Parent Loop BB8_60 Depth=1
                                        ; =>  This Loop Header: Depth=2
                                        ;       Child Loop BB8_69 Depth 3
	s_delay_alu instid0(VALU_DEP_1) | instskip(SKIP_1) | instid1(VALU_DEP_1)
	v_lshlrev_b64 v[9:10], 2, v[1:2]
	s_mov_b32 s25, exec_lo
	v_add_co_u32 v9, s3, s10, v9
	s_delay_alu instid0(VALU_DEP_1)
	v_add_co_ci_u32_e64 v10, s3, s11, v10, s3
	global_load_b32 v9, v[9:10], off
	s_waitcnt vmcnt(0)
	v_cmpx_ne_u32_e32 0, v9
	s_cbranch_execz .LBB8_64
; %bb.66:                               ;   in Loop: Header=BB8_65 Depth=2
	v_lshl_add_u32 v9, v1, 2, 0
	ds_load_b32 v10, v9
	s_and_saveexec_b32 s26, vcc_lo
	s_cbranch_execz .LBB8_63
; %bb.67:                               ;   in Loop: Header=BB8_65 Depth=2
	v_dual_mov_b32 v11, v6 :: v_dual_mov_b32 v12, v3
	v_mov_b32_e32 v13, v7
	s_mov_b32 s27, 0
	s_branch .LBB8_69
.LBB8_68:                               ;   in Loop: Header=BB8_69 Depth=3
	s_or_b32 exec_lo, exec_lo, s4
	ds_bpermute_b32 v14, v4, v14
	v_add_nc_u32_e32 v13, 8, v13
	v_add_nc_u32_e32 v12, s21, v12
	;; [unrolled: 1-line block ×3, first 2 shown]
	s_delay_alu instid0(VALU_DEP_3) | instskip(NEXT) | instid1(VALU_DEP_1)
	v_cmp_le_i32_e64 s3, s33, v13
	s_or_b32 s27, s3, s27
	s_waitcnt lgkmcnt(0)
	v_add_nc_u32_e32 v10, v14, v10
	s_and_not1_b32 exec_lo, exec_lo, s27
	s_cbranch_execz .LBB8_62
.LBB8_69:                               ;   Parent Loop BB8_60 Depth=1
                                        ;     Parent Loop BB8_65 Depth=2
                                        ; =>    This Inner Loop Header: Depth=3
	ds_load_b32 v15, v11
	s_waitcnt lgkmcnt(0)
	v_cmp_ne_u32_e64 s3, 0, v15
	s_delay_alu instid0(VALU_DEP_1) | instskip(NEXT) | instid1(VALU_DEP_1)
	v_cndmask_b32_e64 v14, 0, 1, s3
	v_mov_b32_dpp v14, v14 row_shr:1 row_mask:0xf bank_mask:0xf bound_ctrl:1
	s_delay_alu instid0(VALU_DEP_1) | instskip(NEXT) | instid1(VALU_DEP_1)
	v_add_co_ci_u32_e64 v16, s4, 0, v14, s3
	v_mov_b32_dpp v16, v16 row_shr:2 row_mask:0xf bank_mask:0xf bound_ctrl:1
	s_delay_alu instid0(VALU_DEP_1) | instskip(NEXT) | instid1(VALU_DEP_1)
	v_add_co_ci_u32_e64 v14, s4, v16, v14, s3
	v_add_nc_u32_dpp v14, v14, v14 row_shr:4 row_mask:0xf bank_mask:0xf bound_ctrl:1
	s_delay_alu instid0(VALU_DEP_1) | instskip(NEXT) | instid1(VALU_DEP_1)
	v_add_nc_u32_dpp v14, v14, v14 row_shr:8 row_mask:0xf bank_mask:0xf bound_ctrl:1
	v_mov_b32_dpp v16, v14 row_share:7 row_mask:0xf bank_mask:0xf bound_ctrl:1
	s_delay_alu instid0(VALU_DEP_1) | instskip(NEXT) | instid1(VALU_DEP_1)
	v_cndmask_b32_e64 v16, v16, 0, s2
	v_sub_nc_u32_e32 v14, v14, v16
	s_and_saveexec_b32 s4, s3
	s_cbranch_execz .LBB8_68
; %bb.70:                               ;   in Loop: Header=BB8_69 Depth=3
	v_add_nc_u32_e32 v16, v12, v15
	v_add_nc_u32_e32 v18, s20, v13
	s_delay_alu instid0(VALU_DEP_2) | instskip(NEXT) | instid1(VALU_DEP_2)
	v_ashrrev_i32_e32 v17, 31, v16
	v_perm_b32 v18, v15, v18, 0x4020100
	s_delay_alu instid0(VALU_DEP_2) | instskip(NEXT) | instid1(VALU_DEP_2)
	v_lshlrev_b64 v[16:17], 2, v[16:17]
	v_add_nc_u32_e32 v20, 0xff000000, v18
	s_delay_alu instid0(VALU_DEP_2) | instskip(NEXT) | instid1(VALU_DEP_1)
	v_add_co_u32 v16, s3, s12, v16
	v_add_co_ci_u32_e64 v17, s3, s13, v17, s3
	global_load_b32 v19, v[16:17], off
	v_add_nc_u32_e32 v16, v14, v10
	s_delay_alu instid0(VALU_DEP_1) | instskip(NEXT) | instid1(VALU_DEP_1)
	v_ashrrev_i32_e32 v17, 31, v16
	v_lshlrev_b64 v[15:16], 2, v[16:17]
	s_delay_alu instid0(VALU_DEP_1) | instskip(NEXT) | instid1(VALU_DEP_1)
	v_add_co_u32 v17, s3, s6, v15
	v_add_co_ci_u32_e64 v18, s3, s7, v16, s3
	v_add_co_u32 v15, s3, s14, v15
	s_delay_alu instid0(VALU_DEP_1)
	v_add_co_ci_u32_e64 v16, s3, s15, v16, s3
	global_store_b32 v[17:18], v20, off
	s_waitcnt vmcnt(0)
	global_store_b32 v[15:16], v19, off
	s_branch .LBB8_68
.LBB8_71:
	s_and_saveexec_b32 s0, s1
	s_cbranch_execz .LBB8_77
; %bb.72:
	v_mov_b32_e32 v6, 0
	s_and_b32 s0, s8, 0xffffff
	s_lshl_b32 s1, s28, 24
	s_add_i32 s5, s5, 4
	s_or_b32 s1, s1, s0
	s_mov_b32 s2, 0
	s_set_inst_prefetch_distance 0x1
	s_branch .LBB8_74
	.p2align	6
.LBB8_73:                               ;   in Loop: Header=BB8_74 Depth=1
	s_or_b32 exec_lo, exec_lo, s3
	v_add_nc_u32_e32 v0, 0x100, v0
	s_delay_alu instid0(VALU_DEP_1) | instskip(SKIP_1) | instid1(SALU_CYCLE_1)
	v_cmp_le_i32_e32 vcc_lo, s9, v0
	s_or_b32 s2, vcc_lo, s2
	s_and_not1_b32 exec_lo, exec_lo, s2
	s_cbranch_execz .LBB8_77
.LBB8_74:                               ; =>This Loop Header: Depth=1
                                        ;     Child Loop BB8_76 Depth 2
	v_lshlrev_b32_e32 v1, 2, v0
	s_mov_b32 s3, exec_lo
	s_delay_alu instid0(VALU_DEP_1)
	v_add_nc_u32_e32 v2, 0, v1
	v_add_nc_u32_e32 v3, s5, v1
	ds_load_b32 v1, v2
	ds_load_b32 v7, v3
	s_waitcnt lgkmcnt(0)
	v_cmpx_lt_i32_e64 v1, v7
	s_cbranch_execz .LBB8_73
; %bb.75:                               ;   in Loop: Header=BB8_74 Depth=1
	v_ashrrev_i32_e32 v2, 31, v1
	s_mov_b32 s4, 0
	s_delay_alu instid0(VALU_DEP_1) | instskip(NEXT) | instid1(VALU_DEP_1)
	v_lshlrev_b64 v[4:5], 2, v[1:2]
	v_add_co_u32 v2, vcc_lo, s16, v4
	s_delay_alu instid0(VALU_DEP_2)
	v_add_co_ci_u32_e32 v3, vcc_lo, s17, v5, vcc_lo
	v_add_co_u32 v4, vcc_lo, s18, v4
	v_add_co_ci_u32_e32 v5, vcc_lo, s19, v5, vcc_lo
	.p2align	6
.LBB8_76:                               ;   Parent Loop BB8_74 Depth=1
                                        ; =>  This Inner Loop Header: Depth=2
	v_dual_mov_b32 v8, s1 :: v_dual_add_nc_u32 v1, 1, v1
	global_store_b32 v[4:5], v6, off
	v_add_co_u32 v4, vcc_lo, v4, 4
	v_add_co_ci_u32_e32 v5, vcc_lo, 0, v5, vcc_lo
	global_store_b32 v[2:3], v8, off
	v_cmp_ge_i32_e32 vcc_lo, v1, v7
	v_add_co_u32 v2, s0, v2, 4
	s_delay_alu instid0(VALU_DEP_1) | instskip(SKIP_1) | instid1(SALU_CYCLE_1)
	v_add_co_ci_u32_e64 v3, s0, 0, v3, s0
	s_or_b32 s4, vcc_lo, s4
	s_and_not1_b32 exec_lo, exec_lo, s4
	s_cbranch_execnz .LBB8_76
	s_branch .LBB8_73
.LBB8_77:
	s_set_inst_prefetch_distance 0x2
	s_nop 0
	s_sendmsg sendmsg(MSG_DEALLOC_VGPRS)
	s_endpgm
	.section	.rodata,"a",@progbits
	.p2align	6, 0x0
	.amdhsa_kernel _ZN5aiter22opus_moe_sorting_entryINS_16MoeSortingKernelINS_19MoeSortingProblemExIifLi1ELb1ELb1ELb0ELb1ELi0EEEEENS4_5KargsEEEvT0_
		.amdhsa_group_segment_fixed_size 0
		.amdhsa_private_segment_fixed_size 0
		.amdhsa_kernarg_size 400
		.amdhsa_user_sgpr_count 15
		.amdhsa_user_sgpr_dispatch_ptr 0
		.amdhsa_user_sgpr_queue_ptr 0
		.amdhsa_user_sgpr_kernarg_segment_ptr 1
		.amdhsa_user_sgpr_dispatch_id 0
		.amdhsa_user_sgpr_private_segment_size 0
		.amdhsa_wavefront_size32 1
		.amdhsa_uses_dynamic_stack 0
		.amdhsa_enable_private_segment 0
		.amdhsa_system_sgpr_workgroup_id_x 1
		.amdhsa_system_sgpr_workgroup_id_y 0
		.amdhsa_system_sgpr_workgroup_id_z 0
		.amdhsa_system_sgpr_workgroup_info 0
		.amdhsa_system_vgpr_workitem_id 0
		.amdhsa_next_free_vgpr 21
		.amdhsa_next_free_sgpr 40
		.amdhsa_reserve_vcc 1
		.amdhsa_float_round_mode_32 0
		.amdhsa_float_round_mode_16_64 0
		.amdhsa_float_denorm_mode_32 3
		.amdhsa_float_denorm_mode_16_64 3
		.amdhsa_dx10_clamp 1
		.amdhsa_ieee_mode 1
		.amdhsa_fp16_overflow 0
		.amdhsa_workgroup_processor_mode 1
		.amdhsa_memory_ordered 1
		.amdhsa_forward_progress 0
		.amdhsa_shared_vgpr_count 0
		.amdhsa_exception_fp_ieee_invalid_op 0
		.amdhsa_exception_fp_denorm_src 0
		.amdhsa_exception_fp_ieee_div_zero 0
		.amdhsa_exception_fp_ieee_overflow 0
		.amdhsa_exception_fp_ieee_underflow 0
		.amdhsa_exception_fp_ieee_inexact 0
		.amdhsa_exception_int_div_zero 0
	.end_amdhsa_kernel
	.section	.text._ZN5aiter22opus_moe_sorting_entryINS_16MoeSortingKernelINS_19MoeSortingProblemExIifLi1ELb1ELb1ELb0ELb1ELi0EEEEENS4_5KargsEEEvT0_,"axG",@progbits,_ZN5aiter22opus_moe_sorting_entryINS_16MoeSortingKernelINS_19MoeSortingProblemExIifLi1ELb1ELb1ELb0ELb1ELi0EEEEENS4_5KargsEEEvT0_,comdat
.Lfunc_end8:
	.size	_ZN5aiter22opus_moe_sorting_entryINS_16MoeSortingKernelINS_19MoeSortingProblemExIifLi1ELb1ELb1ELb0ELb1ELi0EEEEENS4_5KargsEEEvT0_, .Lfunc_end8-_ZN5aiter22opus_moe_sorting_entryINS_16MoeSortingKernelINS_19MoeSortingProblemExIifLi1ELb1ELb1ELb0ELb1ELi0EEEEENS4_5KargsEEEvT0_
                                        ; -- End function
	.section	.AMDGPU.csdata,"",@progbits
; Kernel info:
; codeLenInByte = 3484
; NumSgprs: 42
; NumVgprs: 21
; ScratchSize: 0
; MemoryBound: 0
; FloatMode: 240
; IeeeMode: 1
; LDSByteSize: 0 bytes/workgroup (compile time only)
; SGPRBlocks: 5
; VGPRBlocks: 2
; NumSGPRsForWavesPerEU: 42
; NumVGPRsForWavesPerEU: 21
; Occupancy: 16
; WaveLimiterHint : 1
; COMPUTE_PGM_RSRC2:SCRATCH_EN: 0
; COMPUTE_PGM_RSRC2:USER_SGPR: 15
; COMPUTE_PGM_RSRC2:TRAP_HANDLER: 0
; COMPUTE_PGM_RSRC2:TGID_X_EN: 1
; COMPUTE_PGM_RSRC2:TGID_Y_EN: 0
; COMPUTE_PGM_RSRC2:TGID_Z_EN: 0
; COMPUTE_PGM_RSRC2:TIDIG_COMP_CNT: 0
	.section	.text._ZN5aiter22opus_moe_sorting_entryINS_16MoeSortingKernelINS_19MoeSortingProblemExIifLi8ELb0ELb1ELb1ELb1ELi0EEEEENS4_5KargsEEEvT0_,"axG",@progbits,_ZN5aiter22opus_moe_sorting_entryINS_16MoeSortingKernelINS_19MoeSortingProblemExIifLi8ELb0ELb1ELb1ELb1ELi0EEEEENS4_5KargsEEEvT0_,comdat
	.protected	_ZN5aiter22opus_moe_sorting_entryINS_16MoeSortingKernelINS_19MoeSortingProblemExIifLi8ELb0ELb1ELb1ELb1ELi0EEEEENS4_5KargsEEEvT0_ ; -- Begin function _ZN5aiter22opus_moe_sorting_entryINS_16MoeSortingKernelINS_19MoeSortingProblemExIifLi8ELb0ELb1ELb1ELb1ELi0EEEEENS4_5KargsEEEvT0_
	.globl	_ZN5aiter22opus_moe_sorting_entryINS_16MoeSortingKernelINS_19MoeSortingProblemExIifLi8ELb0ELb1ELb1ELb1ELi0EEEEENS4_5KargsEEEvT0_
	.p2align	8
	.type	_ZN5aiter22opus_moe_sorting_entryINS_16MoeSortingKernelINS_19MoeSortingProblemExIifLi8ELb0ELb1ELb1ELb1ELi0EEEEENS4_5KargsEEEvT0_,@function
_ZN5aiter22opus_moe_sorting_entryINS_16MoeSortingKernelINS_19MoeSortingProblemExIifLi8ELb0ELb1ELb1ELb1ELi0EEEEENS4_5KargsEEEvT0_: ; @_ZN5aiter22opus_moe_sorting_entryINS_16MoeSortingKernelINS_19MoeSortingProblemExIifLi8ELb0ELb1ELb1ELb1ELi0EEEEENS4_5KargsEEEvT0_
; %bb.0:
	s_clause 0x2
	s_load_b512 s[16:31], s[0:1], 0x0
	s_load_b128 s[40:43], s[0:1], 0x40
	s_load_b128 s[36:39], s[0:1], 0x54
	s_cmp_eq_u32 s15, 0
	s_waitcnt lgkmcnt(0)
	s_load_b32 s22, s[22:23], 0x0
	s_cbranch_scc1 .LBB9_7
; %bb.1:
	s_cmp_eq_u64 s[40:41], 0
	s_cbranch_scc1 .LBB9_6
; %bb.2:
	s_waitcnt lgkmcnt(0)
	s_ashr_i32 s2, s22, 31
	s_mul_i32 s3, s38, s37
	s_mul_hi_i32 s5, s38, s37
	s_mul_i32 s2, s3, s2
	s_mul_hi_u32 s4, s3, s22
	s_mul_i32 s5, s5, s22
	s_add_i32 s2, s4, s2
	s_mul_i32 s3, s3, s22
	s_add_i32 s4, s2, s5
	v_mov_b32_e32 v2, 0
	s_ashr_i32 s2, s4, 31
	s_mov_b32 s7, 0
	s_lshr_b32 s2, s2, 28
	s_delay_alu instid0(SALU_CYCLE_1) | instskip(SKIP_2) | instid1(SALU_CYCLE_1)
	s_add_u32 s2, s3, s2
	s_addc_u32 s3, s4, 0
	s_lshl_b32 s4, s15, 8
	v_add3_u32 v1, v0, s4, 0xffffff00
	s_ashr_i64 s[4:5], s[2:3], 4
	s_mov_b32 s3, exec_lo
	s_delay_alu instid0(VALU_DEP_1)
	v_cmpx_gt_i64_e64 s[4:5], v[1:2]
	s_cbranch_execz .LBB9_5
; %bb.3:
	s_load_b32 s2, s[0:1], 0x90
	v_lshlrev_b64 v[3:4], 4, v[1:2]
	v_dual_mov_b32 v6, v2 :: v_dual_mov_b32 v5, v1
	v_mov_b32_e32 v1, v2
	s_delay_alu instid0(VALU_DEP_3) | instskip(NEXT) | instid1(VALU_DEP_4)
	v_add_co_u32 v7, vcc_lo, s40, v3
	v_add_co_ci_u32_e32 v8, vcc_lo, s41, v4, vcc_lo
	v_mov_b32_e32 v3, v2
	v_mov_b32_e32 v4, v2
	s_waitcnt lgkmcnt(0)
	s_lshl_b32 s2, s2, 8
	s_delay_alu instid0(SALU_CYCLE_1) | instskip(NEXT) | instid1(SALU_CYCLE_1)
	s_add_i32 s6, s2, 0xffffff00
	s_lshl_b64 s[8:9], s[6:7], 4
.LBB9_4:                                ; =>This Inner Loop Header: Depth=1
	v_add_co_u32 v5, vcc_lo, v5, s6
	v_add_co_ci_u32_e32 v6, vcc_lo, 0, v6, vcc_lo
	global_store_b128 v[7:8], v[1:4], off
	v_add_co_u32 v7, s2, v7, s8
	v_cmp_le_i64_e32 vcc_lo, s[4:5], v[5:6]
	v_add_co_ci_u32_e64 v8, s2, s9, v8, s2
	s_or_b32 s7, vcc_lo, s7
	s_delay_alu instid0(SALU_CYCLE_1)
	s_and_not1_b32 exec_lo, exec_lo, s7
	s_cbranch_execnz .LBB9_4
.LBB9_5:
	s_or_b32 exec_lo, exec_lo, s3
.LBB9_6:
	s_cbranch_execz .LBB9_8
	s_branch .LBB9_85
.LBB9_7:
.LBB9_8:
	s_clause 0x1
	s_load_b256 s[4:11], s[0:1], 0x64
	s_load_b64 s[12:13], s[0:1], 0x84
	v_lshrrev_b32_e32 v1, 5, v0
	v_lshlrev_b32_e32 v7, 2, v0
	s_add_i32 s34, s36, 1
	s_delay_alu instid0(VALU_DEP_2) | instskip(SKIP_2) | instid1(SALU_CYCLE_1)
	v_readfirstlane_b32 s40, v1
	s_waitcnt lgkmcnt(0)
	s_add_i32 s23, s4, -2
	s_mul_i32 s33, s23, s36
	s_delay_alu instid0(SALU_CYCLE_1) | instskip(NEXT) | instid1(VALU_DEP_1)
	v_cmp_gt_i32_e64 s0, s33, v0
	s_and_saveexec_b32 s35, s0
	s_cbranch_execz .LBB9_11
; %bb.9:
	s_lshl_b32 s1, s36, 3
	v_mad_u64_u32 v[1:2], null, v0, s12, 0
	s_add_i32 s1, s1, 0
	v_dual_mov_b32 v4, 0 :: v_dual_mov_b32 v5, v0
	v_add3_u32 v3, s1, v7, 8
	s_mov_b32 s3, 0
	s_sub_i32 s14, s34, s11
	s_mov_b32 s2, s12
	s_lshl_b32 s37, s14, 2
	s_lshl_b64 s[14:15], s[2:3], 8
	.p2align	6
.LBB9_10:                               ; =>This Inner Loop Header: Depth=1
	v_add_nc_u32_e32 v6, v5, v2
	v_add_nc_u32_e32 v5, 0x100, v5
	v_add_co_u32 v1, vcc_lo, v1, s14
	v_add_co_ci_u32_e32 v2, vcc_lo, s15, v2, vcc_lo
	s_delay_alu instid0(VALU_DEP_4) | instskip(NEXT) | instid1(VALU_DEP_4)
	v_lshrrev_b32_e32 v6, s13, v6
	v_cmp_le_i32_e64 s1, s33, v5
	s_delay_alu instid0(VALU_DEP_2) | instskip(SKIP_1) | instid1(VALU_DEP_3)
	v_mad_u64_u32 v[8:9], null, s37, v6, v[3:4]
	v_add_nc_u32_e32 v3, 0x400, v3
	s_or_b32 s3, s1, s3
	ds_store_b32 v8, v4
	s_and_not1_b32 exec_lo, exec_lo, s3
	s_cbranch_execnz .LBB9_10
.LBB9_11:
	s_or_b32 exec_lo, exec_lo, s35
	s_lshl_b32 s1, s34, 3
	s_mul_i32 s37, s8, s23
	s_add_i32 s35, s1, 0
	v_cmp_gt_i32_e32 vcc_lo, s37, v0
	s_cmp_gt_i32 s22, 0
	s_mov_b32 s3, 0
	s_cselect_b32 s38, -1, 0
	s_cmp_lt_i32 s22, 1
	s_waitcnt lgkmcnt(0)
	s_waitcnt_vscnt null, 0x0
	s_barrier
	buffer_gl0_inv
	s_cbranch_scc1 .LBB9_19
; %bb.12:
	v_mad_u64_u32 v[1:2], null, v0, s9, 0
	v_mov_b32_e32 v4, 0
	s_mov_b32 s2, s9
	s_mov_b32 s39, 0
	s_lshl_b64 s[14:15], s[2:3], 8
	s_branch .LBB9_14
.LBB9_13:                               ;   in Loop: Header=BB9_14 Depth=1
	s_set_inst_prefetch_distance 0x2
	s_or_b32 exec_lo, exec_lo, s41
	s_add_i32 s39, s39, s23
	s_add_i32 s3, s3, s37
	s_cmp_ge_i32 s39, s22
	s_waitcnt lgkmcnt(0)
	s_barrier
	buffer_gl0_inv
	s_cbranch_scc1 .LBB9_19
.LBB9_14:                               ; =>This Loop Header: Depth=1
                                        ;     Child Loop BB9_17 Depth 2
	s_and_saveexec_b32 s41, vcc_lo
	s_cbranch_execz .LBB9_13
; %bb.15:                               ;   in Loop: Header=BB9_14 Depth=1
	v_dual_mov_b32 v6, v2 :: v_dual_mov_b32 v5, v1
	v_mov_b32_e32 v8, v0
	s_mov_b32 s44, 0
	s_set_inst_prefetch_distance 0x1
	s_branch .LBB9_17
	.p2align	6
.LBB9_16:                               ;   in Loop: Header=BB9_17 Depth=2
	s_or_b32 exec_lo, exec_lo, s2
	v_add_nc_u32_e32 v8, 0x100, v8
	v_add_co_u32 v5, s2, v5, s14
	s_delay_alu instid0(VALU_DEP_1) | instskip(NEXT) | instid1(VALU_DEP_3)
	v_add_co_ci_u32_e64 v6, s2, s15, v6, s2
	v_cmp_le_i32_e64 s1, s37, v8
	s_waitcnt vmcnt(48) lgkmcnt(7)
	s_delay_alu instid0(VALU_DEP_1) | instskip(NEXT) | instid1(SALU_CYCLE_1)
	s_or_b32 s44, s1, s44
	s_and_not1_b32 exec_lo, exec_lo, s44
	s_cbranch_execz .LBB9_13
.LBB9_17:                               ;   Parent Loop BB9_14 Depth=1
                                        ; =>  This Inner Loop Header: Depth=2
	s_delay_alu instid0(VALU_DEP_1) | instskip(SKIP_1) | instid1(VALU_DEP_1)
	v_add_nc_u32_e32 v3, v8, v6
	s_mov_b32 s2, exec_lo
	v_lshrrev_b32_e32 v9, s10, v3
	s_delay_alu instid0(VALU_DEP_1) | instskip(NEXT) | instid1(VALU_DEP_1)
	v_add_nc_u32_e32 v3, s39, v9
	v_cmpx_gt_i32_e64 s22, v3
	s_cbranch_execz .LBB9_16
; %bb.18:                               ;   in Loop: Header=BB9_17 Depth=2
	v_add_nc_u32_e32 v3, s3, v8
	v_mul_lo_u32 v9, v9, s34
	s_delay_alu instid0(VALU_DEP_2) | instskip(NEXT) | instid1(VALU_DEP_2)
	v_lshlrev_b64 v[10:11], 2, v[3:4]
	v_lshlrev_b32_e32 v9, 2, v9
	s_delay_alu instid0(VALU_DEP_2) | instskip(NEXT) | instid1(VALU_DEP_1)
	v_add_co_u32 v10, s1, s16, v10
	v_add_co_ci_u32_e64 v11, s1, s17, v11, s1
	global_load_b32 v3, v[10:11], off
	s_waitcnt vmcnt(0)
	v_lshlrev_b32_e32 v3, 2, v3
	s_delay_alu instid0(VALU_DEP_1)
	v_add3_u32 v3, s35, v3, v9
	ds_load_b32 v9, v3
	s_waitcnt lgkmcnt(0)
	v_add_nc_u32_e32 v9, 1, v9
	ds_store_b32 v3, v9
	s_branch .LBB9_16
.LBB9_19:
	s_mov_b32 s1, exec_lo
	v_cmpx_eq_u32_e32 0, v0
	s_cbranch_execz .LBB9_21
; %bb.20:
	v_mov_b32_e32 v1, 0
	ds_store_b32 v1, v1
.LBB9_21:
	s_or_b32 exec_lo, exec_lo, s1
	v_and_b32_e32 v9, 7, v0
	v_lshrrev_b32_e32 v10, 3, v0
	v_mbcnt_lo_u32_b32 v12, -1, 0
	s_mov_b32 s14, 0
	s_delay_alu instid0(VALU_DEP_3) | instskip(NEXT) | instid1(VALU_DEP_3)
	v_mul_lo_u32 v1, s34, v9
	v_cmp_gt_i32_e64 s1, s36, v10
	v_lshlrev_b32_e32 v11, 2, v10
	s_delay_alu instid0(VALU_DEP_3) | instskip(NEXT) | instid1(VALU_DEP_3)
	v_lshlrev_b32_e32 v8, 2, v1
	s_and_saveexec_b32 s3, s1
	s_cbranch_execz .LBB9_29
; %bb.22:
	s_cmp_gt_i32 s4, 2
	v_lshlrev_b32_e32 v3, 2, v12
	s_cselect_b32 s4, -1, 0
	s_lshl_b32 s2, s36, 3
	v_mov_b32_e32 v5, v10
	v_add3_u32 v4, v8, s2, v11
	v_cmp_eq_u32_e64 s2, 0, v9
	v_xor_b32_e32 v1, 4, v3
	v_xor_b32_e32 v2, 8, v3
	;; [unrolled: 1-line block ×3, first 2 shown]
	v_add3_u32 v4, v4, 0, 8
	s_lshl_b32 s39, s36, 8
	s_lshl_b32 s15, s36, 5
	s_addk_i32 s39, 0x100
	s_add_i32 s41, s15, 32
	s_branch .LBB9_24
.LBB9_23:                               ;   in Loop: Header=BB9_24 Depth=1
	s_or_b32 exec_lo, exec_lo, s44
	v_add_nc_u32_e32 v5, 32, v5
	v_add_nc_u32_e32 v4, 0x80, v4
	s_delay_alu instid0(VALU_DEP_2) | instskip(SKIP_1) | instid1(SALU_CYCLE_1)
	v_cmp_le_i32_e32 vcc_lo, s36, v5
	s_or_b32 s14, vcc_lo, s14
	s_and_not1_b32 exec_lo, exec_lo, s14
	s_cbranch_execz .LBB9_29
.LBB9_24:                               ; =>This Loop Header: Depth=1
                                        ;     Child Loop BB9_26 Depth 2
	v_mov_b32_e32 v6, 0
	s_and_not1_b32 vcc_lo, exec_lo, s4
	s_cbranch_vccnz .LBB9_27
; %bb.25:                               ;   in Loop: Header=BB9_24 Depth=1
	v_dual_mov_b32 v6, 0 :: v_dual_mov_b32 v13, v4
	s_mov_b32 s44, 0
.LBB9_26:                               ;   Parent Loop BB9_24 Depth=1
                                        ; =>  This Inner Loop Header: Depth=2
	s_delay_alu instid0(VALU_DEP_1) | instskip(SKIP_2) | instid1(SALU_CYCLE_1)
	v_add_nc_u32_e32 v14, s15, v13
	ds_load_b32 v15, v13
	s_add_i32 s44, s44, 64
	s_cmp_lt_i32 s44, s23
	v_add_nc_u32_e32 v16, s41, v14
	ds_load_b32 v14, v14 offset:32
	v_add_nc_u32_e32 v17, s41, v16
	ds_load_b32 v16, v16 offset:32
	;; [unrolled: 2-line block ×3, first 2 shown]
	v_add_nc_u32_e32 v13, s39, v13
	v_add_nc_u32_e32 v19, s41, v18
	s_waitcnt lgkmcnt(3)
	ds_bpermute_b32 v20, v1, v15
	ds_load_b32 v18, v18 offset:32
	ds_load_b32 v21, v19 offset:32
	v_add_nc_u32_e32 v19, s41, v19
	s_waitcnt lgkmcnt(5)
	ds_bpermute_b32 v22, v1, v14
	ds_load_b32 v24, v19 offset:32
	s_waitcnt lgkmcnt(6)
	ds_bpermute_b32 v23, v1, v16
	v_add_nc_u32_e32 v19, s41, v19
	s_waitcnt lgkmcnt(6)
	ds_bpermute_b32 v25, v1, v17
	ds_load_b32 v19, v19 offset:32
	s_waitcnt lgkmcnt(7)
	v_add_nc_u32_e32 v15, v20, v15
	s_waitcnt lgkmcnt(6)
	ds_bpermute_b32 v20, v1, v18
	ds_bpermute_b32 v26, v2, v15
	s_waitcnt lgkmcnt(6)
	v_add_nc_u32_e32 v14, v22, v14
	ds_bpermute_b32 v22, v1, v21
	s_waitcnt lgkmcnt(6)
	ds_bpermute_b32 v27, v1, v24
	s_waitcnt lgkmcnt(6)
	v_add_nc_u32_e32 v16, v23, v16
	ds_bpermute_b32 v23, v2, v14
	ds_bpermute_b32 v28, v2, v16
	s_waitcnt lgkmcnt(7)
	v_add_nc_u32_e32 v17, v25, v17
	s_waitcnt lgkmcnt(6)
	ds_bpermute_b32 v25, v1, v19
	ds_bpermute_b32 v29, v2, v17
	s_waitcnt lgkmcnt(7)
	v_add_nc_u32_e32 v18, v20, v18
	s_waitcnt lgkmcnt(6)
	v_add_nc_u32_e32 v15, v26, v15
	;; [unrolled: 2-line block ×3, first 2 shown]
	ds_bpermute_b32 v20, v2, v18
	ds_bpermute_b32 v22, v3, v15
	s_waitcnt lgkmcnt(5)
	v_add_nc_u32_e32 v14, v23, v14
	v_add_nc_u32_e32 v23, v27, v24
	ds_bpermute_b32 v24, v2, v21
	s_waitcnt lgkmcnt(5)
	v_add_nc_u32_e32 v16, v28, v16
	ds_bpermute_b32 v26, v3, v14
	ds_bpermute_b32 v27, v2, v23
	s_waitcnt lgkmcnt(6)
	v_add_nc_u32_e32 v19, v25, v19
	ds_bpermute_b32 v25, v3, v16
	s_waitcnt lgkmcnt(6)
	v_add_nc_u32_e32 v17, v29, v17
	ds_bpermute_b32 v28, v2, v19
	ds_bpermute_b32 v29, v3, v17
	s_waitcnt lgkmcnt(7)
	v_add_nc_u32_e32 v18, v20, v18
	s_waitcnt lgkmcnt(6)
	v_add3_u32 v6, v15, v6, v22
	s_waitcnt lgkmcnt(5)
	v_add_nc_u32_e32 v20, v24, v21
	ds_bpermute_b32 v15, v3, v18
	s_waitcnt lgkmcnt(5)
	v_add3_u32 v6, v6, v14, v26
	s_waitcnt lgkmcnt(4)
	v_add_nc_u32_e32 v14, v27, v23
	ds_bpermute_b32 v21, v3, v20
	s_waitcnt lgkmcnt(4)
	v_add3_u32 v6, v6, v16, v25
	ds_bpermute_b32 v16, v3, v14
	s_waitcnt lgkmcnt(4)
	v_add_nc_u32_e32 v19, v28, v19
	s_waitcnt lgkmcnt(3)
	v_add3_u32 v6, v6, v17, v29
	ds_bpermute_b32 v17, v3, v19
	s_waitcnt lgkmcnt(3)
	v_add3_u32 v6, v6, v18, v15
	s_waitcnt lgkmcnt(2)
	s_delay_alu instid0(VALU_DEP_1) | instskip(SKIP_1) | instid1(VALU_DEP_1)
	v_add3_u32 v6, v6, v20, v21
	s_waitcnt lgkmcnt(1)
	v_add3_u32 v6, v6, v14, v16
	s_waitcnt lgkmcnt(0)
	s_delay_alu instid0(VALU_DEP_1)
	v_add3_u32 v6, v6, v19, v17
	s_cbranch_scc1 .LBB9_26
.LBB9_27:                               ;   in Loop: Header=BB9_24 Depth=1
	s_and_saveexec_b32 s44, s2
	s_cbranch_execz .LBB9_23
; %bb.28:                               ;   in Loop: Header=BB9_24 Depth=1
	v_lshl_add_u32 v13, v5, 2, 0
	ds_store_b32 v13, v6 offset:4
	s_branch .LBB9_23
.LBB9_29:
	s_or_b32 exec_lo, exec_lo, s3
	s_lshl_b32 s14, s36, 2
	v_cmp_gt_i32_e64 s2, s36, v0
	s_add_i32 s15, s14, 0
	s_delay_alu instid0(SALU_CYCLE_1)
	v_dual_mov_b32 v1, 0 :: v_dual_mov_b32 v2, s15
	s_mov_b32 s4, 0
	ds_store_b32 v2, v1 offset:4
	s_and_saveexec_b32 s39, s2
	s_cbranch_execz .LBB9_32
; %bb.30:
	v_add_co_u32 v1, s3, s20, v7
	v_add3_u32 v3, s15, v7, 8
	v_add_co_ci_u32_e64 v2, null, s21, 0, s3
	v_mov_b32_e32 v4, v0
	.p2align	6
.LBB9_31:                               ; =>This Inner Loop Header: Depth=1
	global_load_b32 v5, v[1:2], off
	v_add_nc_u32_e32 v4, 0x100, v4
	v_add_co_u32 v1, vcc_lo, 0x400, v1
	v_add_co_ci_u32_e32 v2, vcc_lo, 0, v2, vcc_lo
	s_delay_alu instid0(VALU_DEP_3) | instskip(NEXT) | instid1(VALU_DEP_1)
	v_cmp_le_i32_e64 s3, s36, v4
	s_or_b32 s4, s3, s4
	s_waitcnt vmcnt(0)
	ds_store_b32 v3, v5
	v_add_nc_u32_e32 v3, 0x400, v3
	s_and_not1_b32 exec_lo, exec_lo, s4
	s_cbranch_execnz .LBB9_31
.LBB9_32:
	s_or_b32 exec_lo, exec_lo, s39
	s_add_i32 s39, s15, 4
	s_cmp_lg_u32 s40, 0
	s_mov_b32 s40, 0
	s_waitcnt lgkmcnt(0)
	s_barrier
	buffer_gl0_inv
	s_cbranch_scc1 .LBB9_43
; %bb.33:
	v_mov_b32_e32 v1, 0
	s_cmp_lt_i32 s36, 1
	s_cbranch_scc1 .LBB9_40
; %bb.34:
	v_lshlrev_b32_e32 v1, 2, v12
	v_cmp_eq_u32_e32 vcc_lo, 0, v12
	v_cmp_lt_u32_e64 s3, 15, v12
	s_add_i32 s41, s5, -1
	s_delay_alu instid0(VALU_DEP_3) | instskip(SKIP_1) | instid1(VALU_DEP_2)
	v_and_b32_e32 v2, 64, v1
	v_add_nc_u32_e32 v3, 0, v1
	v_add_nc_u32_e32 v2, -4, v2
	s_branch .LBB9_36
.LBB9_35:                               ;   in Loop: Header=BB9_36 Depth=1
	s_or_b32 exec_lo, exec_lo, s44
	v_add_nc_u32_e32 v3, 0x80, v3
	s_add_i32 s40, s40, 32
	s_waitcnt vmcnt(48) lgkmcnt(7)
	s_cmp_lt_i32 s40, s36
	s_cbranch_scc0 .LBB9_40
.LBB9_36:                               ; =>This Inner Loop Header: Depth=1
	ds_load_b32 v1, v3 offset:4
	v_add_nc_u32_e32 v4, s14, v3
	s_waitcnt lgkmcnt(1)
	v_cndmask_b32_e64 v6, 0, s40, vcc_lo
	ds_load_b32 v5, v4 offset:8
	v_lshlrev_b32_e32 v6, 2, v6
	s_delay_alu instid0(VALU_DEP_1) | instskip(SKIP_4) | instid1(VALU_DEP_1)
	v_add_nc_u32_e32 v14, 0, v6
	v_add_nc_u32_e32 v6, s39, v6
	ds_load_b32 v6, v6
	s_waitcnt lgkmcnt(2)
	v_add_nc_u32_e32 v1, s41, v1
	v_mul_hi_u32 v13, v1, s6
	s_waitcnt lgkmcnt(1)
	v_cmp_ne_u32_e64 s4, 0, v5
	s_delay_alu instid0(VALU_DEP_2) | instskip(SKIP_3) | instid1(VALU_DEP_1)
	v_add_nc_u32_e32 v1, v1, v13
	ds_load_b32 v13, v14
	v_add_nc_u32_e32 v14, s40, v12
	v_lshrrev_b32_e32 v1, s7, v1
	v_mul_lo_u32 v1, v1, s5
	s_delay_alu instid0(VALU_DEP_1) | instskip(NEXT) | instid1(VALU_DEP_4)
	v_cndmask_b32_e64 v1, 0, v1, s4
	v_cmp_gt_i32_e64 s4, s36, v14
	s_waitcnt lgkmcnt(0)
	s_delay_alu instid0(VALU_DEP_2) | instskip(NEXT) | instid1(VALU_DEP_1)
	v_add_nc_u32_e32 v1, v1, v13
	v_add_nc_u32_dpp v1, v1, v1 row_shr:1 row_mask:0xf bank_mask:0xf bound_ctrl:1
	s_delay_alu instid0(VALU_DEP_1) | instskip(NEXT) | instid1(VALU_DEP_1)
	v_add_nc_u32_dpp v1, v1, v1 row_shr:2 row_mask:0xf bank_mask:0xf bound_ctrl:1
	v_add_nc_u32_dpp v1, v1, v1 row_shr:4 row_mask:0xf bank_mask:0xf bound_ctrl:1
	s_delay_alu instid0(VALU_DEP_1) | instskip(SKIP_3) | instid1(VALU_DEP_1)
	v_add_nc_u32_dpp v1, v1, v1 row_shr:8 row_mask:0xf bank_mask:0xf bound_ctrl:1
	ds_bpermute_b32 v13, v2, v1
	s_waitcnt lgkmcnt(0)
	v_cndmask_b32_e64 v13, 0, v13, s3
	v_add_nc_u32_e32 v1, v1, v13
	s_and_saveexec_b32 s44, s4
	s_cbranch_execz .LBB9_38
; %bb.37:                               ;   in Loop: Header=BB9_36 Depth=1
	ds_store_b32 v3, v1 offset:4
.LBB9_38:                               ;   in Loop: Header=BB9_36 Depth=1
	s_or_b32 exec_lo, exec_lo, s44
	v_add_nc_u32_e32 v5, v5, v6
	s_delay_alu instid0(VALU_DEP_1) | instskip(NEXT) | instid1(VALU_DEP_1)
	v_add_nc_u32_dpp v5, v5, v5 row_shr:1 row_mask:0xf bank_mask:0xf bound_ctrl:1
	v_add_nc_u32_dpp v5, v5, v5 row_shr:2 row_mask:0xf bank_mask:0xf bound_ctrl:1
	s_delay_alu instid0(VALU_DEP_1) | instskip(NEXT) | instid1(VALU_DEP_1)
	v_add_nc_u32_dpp v5, v5, v5 row_shr:4 row_mask:0xf bank_mask:0xf bound_ctrl:1
	v_add_nc_u32_dpp v5, v5, v5 row_shr:8 row_mask:0xf bank_mask:0xf bound_ctrl:1
	ds_bpermute_b32 v6, v2, v5
	s_and_saveexec_b32 s44, s4
	s_cbranch_execz .LBB9_35
; %bb.39:                               ;   in Loop: Header=BB9_36 Depth=1
	s_waitcnt lgkmcnt(0)
	v_cndmask_b32_e64 v6, 0, v6, s3
	s_delay_alu instid0(VALU_DEP_1)
	v_add_nc_u32_e32 v5, v6, v5
	ds_store_b32 v4, v5 offset:8
	s_branch .LBB9_35
.LBB9_40:
	v_add3_u32 v2, v12, s40, 0xffffffe1
	s_mov_b32 s3, exec_lo
	s_delay_alu instid0(VALU_DEP_1)
	v_cmpx_eq_u32_e64 s36, v2
	s_cbranch_execz .LBB9_42
; %bb.41:
	v_dual_mov_b32 v3, 0 :: v_dual_mov_b32 v2, s22
	global_store_b64 v3, v[1:2], s[30:31]
.LBB9_42:
	s_or_b32 exec_lo, exec_lo, s3
.LBB9_43:
	s_cmp_eq_u64 s[42:43], 0
	s_waitcnt lgkmcnt(0)
	s_waitcnt_vscnt null, 0x0
	s_barrier
	buffer_gl0_inv
	s_cbranch_scc1 .LBB9_50
; %bb.44:
	s_mul_i32 s4, s22, s8
	s_mov_b32 s30, exec_lo
	v_cmpx_gt_i32_e64 s4, v0
	s_cbranch_execz .LBB9_49
; %bb.45:
	v_add_co_u32 v1, s3, s16, v7
	s_delay_alu instid0(VALU_DEP_1) | instskip(SKIP_1) | instid1(VALU_DEP_1)
	v_add_co_ci_u32_e64 v2, null, s17, 0, s3
	v_add_co_u32 v3, s3, s42, v7
	v_add_co_ci_u32_e64 v4, null, s43, 0, s3
	v_mov_b32_e32 v13, v0
	s_mov_b32 s31, 0
	s_set_inst_prefetch_distance 0x1
	s_branch .LBB9_47
	.p2align	6
.LBB9_46:                               ;   in Loop: Header=BB9_47 Depth=1
	s_or_b32 exec_lo, exec_lo, s3
	v_add_nc_u32_e32 v13, 0x100, v13
	v_add_co_u32 v1, vcc_lo, 0x400, v1
	v_add_co_ci_u32_e32 v2, vcc_lo, 0, v2, vcc_lo
	s_waitcnt lgkmcnt(0)
	global_store_b32 v[3:4], v6, off
	v_cmp_le_i32_e32 vcc_lo, s4, v13
	v_add_co_u32 v3, s3, 0x400, v3
	s_delay_alu instid0(VALU_DEP_1) | instskip(SKIP_1) | instid1(SALU_CYCLE_1)
	v_add_co_ci_u32_e64 v4, s3, 0, v4, s3
	s_or_b32 s31, vcc_lo, s31
	s_and_not1_b32 exec_lo, exec_lo, s31
	s_cbranch_execz .LBB9_49
.LBB9_47:                               ; =>This Inner Loop Header: Depth=1
	global_load_b32 v5, v[1:2], off
	s_waitcnt vmcnt(0)
	v_ashrrev_i32_e32 v6, 31, v5
	s_delay_alu instid0(VALU_DEP_1) | instskip(NEXT) | instid1(VALU_DEP_1)
	v_lshlrev_b64 v[14:15], 2, v[5:6]
	v_add_co_u32 v14, vcc_lo, s20, v14
	s_delay_alu instid0(VALU_DEP_2)
	v_add_co_ci_u32_e32 v15, vcc_lo, s21, v15, vcc_lo
	global_load_b32 v6, v[14:15], off
	s_waitcnt vmcnt(0)
	v_cmp_ne_u32_e32 vcc_lo, 0, v6
	v_mov_b32_e32 v6, -1
	s_and_saveexec_b32 s3, vcc_lo
	s_cbranch_execz .LBB9_46
; %bb.48:                               ;   in Loop: Header=BB9_47 Depth=1
	v_lshl_add_u32 v5, v5, 2, s39
	ds_load_b32 v6, v5
	s_branch .LBB9_46
.LBB9_49:
	s_set_inst_prefetch_distance 0x2
	s_or_b32 exec_lo, exec_lo, s30
	s_waitcnt_vscnt null, 0x0
	s_barrier
	buffer_gl0_inv
.LBB9_50:
	s_and_saveexec_b32 s4, s2
	s_cbranch_execz .LBB9_57
; %bb.51:
	v_dual_mov_b32 v2, 0 :: v_dual_mov_b32 v3, v0
	s_mov_b32 s30, 0
	s_branch .LBB9_53
.LBB9_52:                               ;   in Loop: Header=BB9_53 Depth=1
	s_or_b32 exec_lo, exec_lo, s31
	v_add_nc_u32_e32 v3, 0x100, v3
	s_delay_alu instid0(VALU_DEP_1) | instskip(SKIP_1) | instid1(SALU_CYCLE_1)
	v_cmp_le_i32_e32 vcc_lo, s36, v3
	s_or_b32 s30, vcc_lo, s30
	s_and_not1_b32 exec_lo, exec_lo, s30
	s_cbranch_execz .LBB9_57
.LBB9_53:                               ; =>This Loop Header: Depth=1
                                        ;     Child Loop BB9_56 Depth 2
	s_delay_alu instid0(VALU_DEP_1) | instskip(SKIP_1) | instid1(VALU_DEP_1)
	v_lshlrev_b32_e32 v1, 2, v3
	s_mov_b32 s31, exec_lo
	v_add_nc_u32_e32 v4, 0, v1
	v_add_nc_u32_e32 v1, s39, v1
	ds_load_2addr_b32 v[5:6], v4 offset1:1
	s_waitcnt lgkmcnt(2)
	ds_load_b32 v13, v1
	s_waitcnt lgkmcnt(1)
	ds_store_b32 v1, v5
	v_cmpx_ne_u32_e64 v5, v6
	s_cbranch_execz .LBB9_52
; %bb.54:                               ;   in Loop: Header=BB9_53 Depth=1
	v_mov_b32_e32 v4, v2
	v_cmp_lt_i32_e64 s3, v5, v6
	s_delay_alu instid0(VALU_DEP_2) | instskip(NEXT) | instid1(VALU_DEP_1)
	v_lshlrev_b64 v[14:15], 2, v[3:4]
	v_add_co_u32 v14, vcc_lo, s20, v14
	s_delay_alu instid0(VALU_DEP_2) | instskip(SKIP_4) | instid1(SALU_CYCLE_1)
	v_add_co_ci_u32_e32 v15, vcc_lo, s21, v15, vcc_lo
	global_load_b32 v1, v[14:15], off
	s_waitcnt vmcnt(0)
	v_cmp_ne_u32_e32 vcc_lo, 0, v1
	s_and_b32 s3, s3, vcc_lo
	s_and_b32 exec_lo, exec_lo, s3
	s_cbranch_execz .LBB9_52
; %bb.55:                               ;   in Loop: Header=BB9_53 Depth=1
	s_mov_b32 s40, 0
	.p2align	6
.LBB9_56:                               ;   Parent Loop BB9_53 Depth=1
                                        ; =>  This Inner Loop Header: Depth=2
	v_mul_hi_u32 v1, s6, v5
	s_delay_alu instid0(VALU_DEP_1) | instskip(SKIP_1) | instid1(VALU_DEP_2)
	v_add_nc_u32_e32 v1, v5, v1
	v_add_nc_u32_e32 v5, s5, v5
	v_lshrrev_b32_e32 v1, s7, v1
	s_delay_alu instid0(VALU_DEP_2) | instskip(NEXT) | instid1(VALU_DEP_2)
	v_cmp_ge_i32_e32 vcc_lo, v5, v6
	v_lshlrev_b64 v[14:15], 2, v[1:2]
	s_or_b32 s40, vcc_lo, s40
	s_delay_alu instid0(VALU_DEP_1) | instskip(NEXT) | instid1(VALU_DEP_1)
	v_add_co_u32 v14, s3, s28, v14
	v_add_co_ci_u32_e64 v15, s3, s29, v15, s3
	s_waitcnt lgkmcnt(1)
	global_store_b32 v[14:15], v13, off
	s_and_not1_b32 exec_lo, exec_lo, s40
	s_cbranch_execnz .LBB9_56
	s_branch .LBB9_52
.LBB9_57:
	s_or_b32 exec_lo, exec_lo, s4
	s_add_i32 s3, s15, s14
	s_delay_alu instid0(SALU_CYCLE_1)
	v_dual_mov_b32 v1, s15 :: v_dual_mov_b32 v2, s3
	s_waitcnt lgkmcnt(0)
	s_waitcnt_vscnt null, 0x0
	s_barrier
	buffer_gl0_inv
	ds_load_b32 v1, v1
	s_and_not1_b32 vcc_lo, exec_lo, s38
	s_waitcnt lgkmcnt(0)
	ds_store_b32 v2, v1 offset:4
	s_cbranch_vccnz .LBB9_79
; %bb.58:
	s_sub_i32 s5, s34, s11
	s_add_u32 s11, s24, -4
	s_addc_u32 s28, s25, -1
	s_add_u32 s29, s18, -4
	s_addc_u32 s30, s19, -1
	v_dual_mov_b32 v6, 0 :: v_dual_and_b32 v1, 8, v12
	s_add_u32 s31, s26, -4
	s_addc_u32 s38, s27, -1
	s_lshl_b32 s18, s36, 3
	s_delay_alu instid0(VALU_DEP_1)
	v_cmp_eq_u32_e64 s4, 0, v1
	v_add3_u32 v5, v8, s18, v11
	v_mad_u64_u32 v[1:2], null, v0, s12, 0
	v_mad_u64_u32 v[3:4], null, v0, s9, 0
	v_mul_lo_u32 v11, s8, v9
	s_add_i32 s14, s18, 0
	s_mov_b32 s7, 0
	v_cmp_gt_i32_e32 vcc_lo, s37, v0
	v_cmp_gt_i32_e64 s3, s23, v9
	v_or_b32_e32 v12, 28, v7
	v_add3_u32 v13, s14, v7, 8
	v_add3_u32 v14, v5, 0, 8
	s_mov_b32 s6, s12
	s_mov_b32 s42, s9
	;; [unrolled: 1-line block ×3, first 2 shown]
	s_lshl_b32 s41, s36, 5
	s_lshl_b32 s40, s5, 2
	s_lshl_b64 s[14:15], s[6:7], 8
	s_sub_i32 s12, 0, s8
	s_lshl_b64 s[18:19], s[42:43], 8
	s_lshl_b32 s9, s8, 3
	s_add_i32 s41, s41, 32
	s_mov_b32 s42, s7
	s_branch .LBB9_60
.LBB9_59:                               ;   in Loop: Header=BB9_60 Depth=1
	s_or_b32 exec_lo, exec_lo, s43
	v_add_nc_u32_e32 v11, s37, v11
	s_add_i32 s42, s42, s23
	s_add_i32 s7, s7, s37
	s_cmp_ge_i32 s42, s22
	s_waitcnt lgkmcnt(0)
	s_waitcnt_vscnt null, 0x0
	s_barrier
	buffer_gl0_inv
	s_cbranch_scc1 .LBB9_79
.LBB9_60:                               ; =>This Loop Header: Depth=1
                                        ;     Child Loop BB9_62 Depth 2
                                        ;     Child Loop BB9_66 Depth 2
	;; [unrolled: 1-line block ×3, first 2 shown]
                                        ;       Child Loop BB9_77 Depth 3
	s_and_saveexec_b32 s43, s0
	s_cbranch_execz .LBB9_63
; %bb.61:                               ;   in Loop: Header=BB9_60 Depth=1
	v_dual_mov_b32 v8, v2 :: v_dual_mov_b32 v7, v1
	v_mov_b32_e32 v5, v13
	v_mov_b32_e32 v15, v0
	s_mov_b32 s44, 0
	.p2align	6
.LBB9_62:                               ;   Parent Loop BB9_60 Depth=1
                                        ; =>  This Inner Loop Header: Depth=2
	s_delay_alu instid0(VALU_DEP_1) | instskip(SKIP_2) | instid1(VALU_DEP_1)
	v_add_nc_u32_e32 v16, v15, v8
	v_add_nc_u32_e32 v15, 0x100, v15
	v_add_co_u32 v7, s5, v7, s14
	v_add_co_ci_u32_e64 v8, s5, s15, v8, s5
	s_delay_alu instid0(VALU_DEP_4) | instskip(NEXT) | instid1(VALU_DEP_4)
	v_lshrrev_b32_e32 v18, s13, v16
	v_cmp_le_i32_e64 s6, s33, v15
	s_delay_alu instid0(VALU_DEP_2) | instskip(SKIP_1) | instid1(VALU_DEP_3)
	v_mad_u64_u32 v[16:17], null, s40, v18, v[5:6]
	v_add_nc_u32_e32 v5, 0x400, v5
	s_or_b32 s44, s6, s44
	ds_store_b32 v16, v6
	s_and_not1_b32 exec_lo, exec_lo, s44
	s_cbranch_execnz .LBB9_62
.LBB9_63:                               ;   in Loop: Header=BB9_60 Depth=1
	s_or_b32 exec_lo, exec_lo, s43
	s_waitcnt lgkmcnt(0)
	s_barrier
	buffer_gl0_inv
	s_and_saveexec_b32 s43, vcc_lo
	s_cbranch_execz .LBB9_68
; %bb.64:                               ;   in Loop: Header=BB9_60 Depth=1
	v_dual_mov_b32 v8, v4 :: v_dual_mov_b32 v7, v3
	v_mov_b32_e32 v5, v0
	s_mov_b32 s44, 0
	s_set_inst_prefetch_distance 0x1
	s_branch .LBB9_66
	.p2align	6
.LBB9_65:                               ;   in Loop: Header=BB9_66 Depth=2
	s_or_b32 exec_lo, exec_lo, s6
	v_add_nc_u32_e32 v5, 0x100, v5
	v_add_co_u32 v7, s6, v7, s18
	s_delay_alu instid0(VALU_DEP_1) | instskip(NEXT) | instid1(VALU_DEP_3)
	v_add_co_ci_u32_e64 v8, s6, s19, v8, s6
	v_cmp_le_i32_e64 s5, s37, v5
	s_delay_alu instid0(VALU_DEP_1) | instskip(NEXT) | instid1(SALU_CYCLE_1)
	s_or_b32 s44, s5, s44
	s_and_not1_b32 exec_lo, exec_lo, s44
	s_cbranch_execz .LBB9_68
.LBB9_66:                               ;   Parent Loop BB9_60 Depth=1
                                        ; =>  This Inner Loop Header: Depth=2
	s_delay_alu instid0(VALU_DEP_1) | instskip(SKIP_1) | instid1(VALU_DEP_1)
	v_add_nc_u32_e32 v15, v5, v8
	s_mov_b32 s6, exec_lo
	v_lshrrev_b32_e32 v15, s10, v15
	s_delay_alu instid0(VALU_DEP_1) | instskip(NEXT) | instid1(VALU_DEP_1)
	v_add_nc_u32_e32 v16, s42, v15
	v_cmpx_gt_i32_e64 s22, v16
	s_cbranch_execz .LBB9_65
; %bb.67:                               ;   in Loop: Header=BB9_66 Depth=2
	v_add_nc_u32_e32 v16, s7, v5
	s_delay_alu instid0(VALU_DEP_1) | instskip(NEXT) | instid1(VALU_DEP_1)
	v_ashrrev_i32_e32 v17, 31, v16
	v_lshlrev_b64 v[16:17], 2, v[16:17]
	s_delay_alu instid0(VALU_DEP_1) | instskip(NEXT) | instid1(VALU_DEP_1)
	v_add_co_u32 v16, s5, s16, v16
	v_add_co_ci_u32_e64 v17, s5, s17, v17, s5
	global_load_b32 v16, v[16:17], off
	v_mul_lo_u32 v17, v15, s34
	v_mul_lo_u32 v15, s12, v15
	s_delay_alu instid0(VALU_DEP_2) | instskip(NEXT) | instid1(VALU_DEP_2)
	v_lshlrev_b32_e32 v17, 2, v17
	v_add3_u32 v15, v5, v15, 1
	s_waitcnt vmcnt(0)
	v_lshlrev_b32_e32 v16, 2, v16
	s_delay_alu instid0(VALU_DEP_1)
	v_add3_u32 v16, s35, v16, v17
	ds_store_b32 v16, v15
	s_branch .LBB9_65
.LBB9_68:                               ;   in Loop: Header=BB9_60 Depth=1
	s_set_inst_prefetch_distance 0x2
	s_or_b32 exec_lo, exec_lo, s43
	s_waitcnt lgkmcnt(0)
	s_barrier
	buffer_gl0_inv
	s_and_saveexec_b32 s43, s1
	s_cbranch_execz .LBB9_59
; %bb.69:                               ;   in Loop: Header=BB9_60 Depth=1
	v_mov_b32_e32 v7, v14
	v_mov_b32_e32 v5, v10
	s_mov_b32 s44, 0
	s_branch .LBB9_73
.LBB9_70:                               ;   in Loop: Header=BB9_73 Depth=2
	s_or_b32 exec_lo, exec_lo, s47
.LBB9_71:                               ;   in Loop: Header=BB9_73 Depth=2
	s_delay_alu instid0(SALU_CYCLE_1)
	s_or_b32 exec_lo, exec_lo, s46
	s_waitcnt lgkmcnt(0)
	ds_store_b32 v8, v15
.LBB9_72:                               ;   in Loop: Header=BB9_73 Depth=2
	s_or_b32 exec_lo, exec_lo, s45
	v_add_nc_u32_e32 v5, 32, v5
	v_add_nc_u32_e32 v7, 0x80, v7
	s_delay_alu instid0(VALU_DEP_2) | instskip(NEXT) | instid1(VALU_DEP_1)
	v_cmp_le_i32_e64 s5, s36, v5
	s_or_b32 s44, s5, s44
	s_delay_alu instid0(SALU_CYCLE_1)
	s_and_not1_b32 exec_lo, exec_lo, s44
	s_cbranch_execz .LBB9_59
.LBB9_73:                               ;   Parent Loop BB9_60 Depth=1
                                        ; =>  This Loop Header: Depth=2
                                        ;       Child Loop BB9_77 Depth 3
	s_delay_alu instid0(VALU_DEP_1) | instskip(SKIP_1) | instid1(VALU_DEP_1)
	v_lshlrev_b64 v[15:16], 2, v[5:6]
	s_mov_b32 s45, exec_lo
	v_add_co_u32 v15, s5, s20, v15
	s_delay_alu instid0(VALU_DEP_1)
	v_add_co_ci_u32_e64 v16, s5, s21, v16, s5
	global_load_b32 v8, v[15:16], off
	s_waitcnt vmcnt(0)
	v_cmpx_ne_u32_e32 0, v8
	s_cbranch_execz .LBB9_72
; %bb.74:                               ;   in Loop: Header=BB9_73 Depth=2
	v_lshl_add_u32 v8, v5, 2, 0
	ds_load_b32 v15, v8
	s_and_saveexec_b32 s46, s3
	s_cbranch_execz .LBB9_71
; %bb.75:                               ;   in Loop: Header=BB9_73 Depth=2
	v_mov_b32_e32 v16, v7
	v_dual_mov_b32 v17, v11 :: v_dual_mov_b32 v18, v9
	s_mov_b32 s47, 0
	s_branch .LBB9_77
.LBB9_76:                               ;   in Loop: Header=BB9_77 Depth=3
	s_or_b32 exec_lo, exec_lo, s6
	ds_bpermute_b32 v19, v12, v19
	v_add_nc_u32_e32 v18, 8, v18
	v_add_nc_u32_e32 v17, s9, v17
	v_add_nc_u32_e32 v16, s41, v16
	s_delay_alu instid0(VALU_DEP_3) | instskip(NEXT) | instid1(VALU_DEP_1)
	v_cmp_le_i32_e64 s5, s23, v18
	s_or_b32 s47, s5, s47
	s_waitcnt lgkmcnt(0)
	v_add_nc_u32_e32 v15, v19, v15
	s_and_not1_b32 exec_lo, exec_lo, s47
	s_cbranch_execz .LBB9_70
.LBB9_77:                               ;   Parent Loop BB9_60 Depth=1
                                        ;     Parent Loop BB9_73 Depth=2
                                        ; =>    This Inner Loop Header: Depth=3
	ds_load_b32 v20, v16
	s_waitcnt lgkmcnt(0)
	v_cmp_ne_u32_e64 s5, 0, v20
	s_delay_alu instid0(VALU_DEP_1) | instskip(NEXT) | instid1(VALU_DEP_1)
	v_cndmask_b32_e64 v19, 0, 1, s5
	v_mov_b32_dpp v19, v19 row_shr:1 row_mask:0xf bank_mask:0xf bound_ctrl:1
	s_delay_alu instid0(VALU_DEP_1) | instskip(NEXT) | instid1(VALU_DEP_1)
	v_add_co_ci_u32_e64 v21, s6, 0, v19, s5
	v_mov_b32_dpp v21, v21 row_shr:2 row_mask:0xf bank_mask:0xf bound_ctrl:1
	s_delay_alu instid0(VALU_DEP_1) | instskip(NEXT) | instid1(VALU_DEP_1)
	v_add_co_ci_u32_e64 v19, s6, v21, v19, s5
	v_add_nc_u32_dpp v19, v19, v19 row_shr:4 row_mask:0xf bank_mask:0xf bound_ctrl:1
	s_delay_alu instid0(VALU_DEP_1) | instskip(NEXT) | instid1(VALU_DEP_1)
	v_add_nc_u32_dpp v19, v19, v19 row_shr:8 row_mask:0xf bank_mask:0xf bound_ctrl:1
	v_mov_b32_dpp v21, v19 row_share:7 row_mask:0xf bank_mask:0xf bound_ctrl:1
	s_delay_alu instid0(VALU_DEP_1) | instskip(NEXT) | instid1(VALU_DEP_1)
	v_cndmask_b32_e64 v21, v21, 0, s4
	v_sub_nc_u32_e32 v19, v19, v21
	s_and_saveexec_b32 s6, s5
	s_cbranch_execz .LBB9_76
; %bb.78:                               ;   in Loop: Header=BB9_77 Depth=3
	v_add_nc_u32_e32 v21, v17, v20
	v_add_nc_u32_e32 v23, s42, v18
	s_delay_alu instid0(VALU_DEP_2) | instskip(NEXT) | instid1(VALU_DEP_2)
	v_ashrrev_i32_e32 v22, 31, v21
	v_perm_b32 v23, v20, v23, 0x4020100
	s_delay_alu instid0(VALU_DEP_2) | instskip(NEXT) | instid1(VALU_DEP_2)
	v_lshlrev_b64 v[21:22], 2, v[21:22]
	v_add_nc_u32_e32 v25, 0xff000000, v23
	s_delay_alu instid0(VALU_DEP_2) | instskip(NEXT) | instid1(VALU_DEP_1)
	v_add_co_u32 v21, s5, s29, v21
	v_add_co_ci_u32_e64 v22, s5, s30, v22, s5
	global_load_b32 v24, v[21:22], off
	v_add_nc_u32_e32 v21, v19, v15
	s_delay_alu instid0(VALU_DEP_1) | instskip(NEXT) | instid1(VALU_DEP_1)
	v_ashrrev_i32_e32 v22, 31, v21
	v_lshlrev_b64 v[20:21], 2, v[21:22]
	s_delay_alu instid0(VALU_DEP_1) | instskip(NEXT) | instid1(VALU_DEP_1)
	v_add_co_u32 v22, s5, s11, v20
	v_add_co_ci_u32_e64 v23, s5, s28, v21, s5
	v_add_co_u32 v20, s5, s31, v20
	s_delay_alu instid0(VALU_DEP_1)
	v_add_co_ci_u32_e64 v21, s5, s38, v21, s5
	global_store_b32 v[22:23], v25, off
	s_waitcnt vmcnt(0)
	global_store_b32 v[20:21], v24, off
	s_branch .LBB9_76
.LBB9_79:
	s_and_saveexec_b32 s0, s2
	s_cbranch_execz .LBB9_85
; %bb.80:
	v_mov_b32_e32 v6, 0
	s_and_b32 s0, s22, 0xffffff
	s_lshl_b32 s1, s8, 24
	s_add_i32 s39, s39, 4
	s_or_b32 s1, s0, s1
	s_mov_b32 s2, 0
	s_set_inst_prefetch_distance 0x1
	s_branch .LBB9_82
	.p2align	6
.LBB9_81:                               ;   in Loop: Header=BB9_82 Depth=1
	s_or_b32 exec_lo, exec_lo, s3
	v_add_nc_u32_e32 v0, 0x100, v0
	s_delay_alu instid0(VALU_DEP_1) | instskip(SKIP_1) | instid1(SALU_CYCLE_1)
	v_cmp_le_i32_e32 vcc_lo, s36, v0
	s_or_b32 s2, vcc_lo, s2
	s_and_not1_b32 exec_lo, exec_lo, s2
	s_cbranch_execz .LBB9_85
.LBB9_82:                               ; =>This Loop Header: Depth=1
                                        ;     Child Loop BB9_84 Depth 2
	v_lshlrev_b32_e32 v1, 2, v0
	s_mov_b32 s3, exec_lo
	s_delay_alu instid0(VALU_DEP_1)
	v_add_nc_u32_e32 v2, 0, v1
	v_add_nc_u32_e32 v3, s39, v1
	ds_load_b32 v1, v2
	ds_load_b32 v7, v3
	s_waitcnt lgkmcnt(0)
	v_cmpx_lt_i32_e64 v1, v7
	s_cbranch_execz .LBB9_81
; %bb.83:                               ;   in Loop: Header=BB9_82 Depth=1
	v_ashrrev_i32_e32 v2, 31, v1
	s_mov_b32 s4, 0
	s_delay_alu instid0(VALU_DEP_1) | instskip(NEXT) | instid1(VALU_DEP_1)
	v_lshlrev_b64 v[4:5], 2, v[1:2]
	v_add_co_u32 v2, vcc_lo, s24, v4
	s_delay_alu instid0(VALU_DEP_2)
	v_add_co_ci_u32_e32 v3, vcc_lo, s25, v5, vcc_lo
	v_add_co_u32 v4, vcc_lo, s26, v4
	v_add_co_ci_u32_e32 v5, vcc_lo, s27, v5, vcc_lo
	.p2align	6
.LBB9_84:                               ;   Parent Loop BB9_82 Depth=1
                                        ; =>  This Inner Loop Header: Depth=2
	v_dual_mov_b32 v8, s1 :: v_dual_add_nc_u32 v1, 1, v1
	global_store_b32 v[4:5], v6, off
	v_add_co_u32 v4, vcc_lo, v4, 4
	v_add_co_ci_u32_e32 v5, vcc_lo, 0, v5, vcc_lo
	global_store_b32 v[2:3], v8, off
	v_cmp_ge_i32_e32 vcc_lo, v1, v7
	v_add_co_u32 v2, s0, v2, 4
	s_delay_alu instid0(VALU_DEP_1) | instskip(SKIP_1) | instid1(SALU_CYCLE_1)
	v_add_co_ci_u32_e64 v3, s0, 0, v3, s0
	s_or_b32 s4, vcc_lo, s4
	s_and_not1_b32 exec_lo, exec_lo, s4
	s_cbranch_execnz .LBB9_84
	s_branch .LBB9_81
.LBB9_85:
	s_set_inst_prefetch_distance 0x2
	s_nop 0
	s_sendmsg sendmsg(MSG_DEALLOC_VGPRS)
	s_endpgm
	.section	.rodata,"a",@progbits
	.p2align	6, 0x0
	.amdhsa_kernel _ZN5aiter22opus_moe_sorting_entryINS_16MoeSortingKernelINS_19MoeSortingProblemExIifLi8ELb0ELb1ELb1ELb1ELi0EEEEENS4_5KargsEEEvT0_
		.amdhsa_group_segment_fixed_size 0
		.amdhsa_private_segment_fixed_size 0
		.amdhsa_kernarg_size 400
		.amdhsa_user_sgpr_count 15
		.amdhsa_user_sgpr_dispatch_ptr 0
		.amdhsa_user_sgpr_queue_ptr 0
		.amdhsa_user_sgpr_kernarg_segment_ptr 1
		.amdhsa_user_sgpr_dispatch_id 0
		.amdhsa_user_sgpr_private_segment_size 0
		.amdhsa_wavefront_size32 1
		.amdhsa_uses_dynamic_stack 0
		.amdhsa_enable_private_segment 0
		.amdhsa_system_sgpr_workgroup_id_x 1
		.amdhsa_system_sgpr_workgroup_id_y 0
		.amdhsa_system_sgpr_workgroup_id_z 0
		.amdhsa_system_sgpr_workgroup_info 0
		.amdhsa_system_vgpr_workitem_id 0
		.amdhsa_next_free_vgpr 30
		.amdhsa_next_free_sgpr 48
		.amdhsa_reserve_vcc 1
		.amdhsa_float_round_mode_32 0
		.amdhsa_float_round_mode_16_64 0
		.amdhsa_float_denorm_mode_32 3
		.amdhsa_float_denorm_mode_16_64 3
		.amdhsa_dx10_clamp 1
		.amdhsa_ieee_mode 1
		.amdhsa_fp16_overflow 0
		.amdhsa_workgroup_processor_mode 1
		.amdhsa_memory_ordered 1
		.amdhsa_forward_progress 0
		.amdhsa_shared_vgpr_count 0
		.amdhsa_exception_fp_ieee_invalid_op 0
		.amdhsa_exception_fp_denorm_src 0
		.amdhsa_exception_fp_ieee_div_zero 0
		.amdhsa_exception_fp_ieee_overflow 0
		.amdhsa_exception_fp_ieee_underflow 0
		.amdhsa_exception_fp_ieee_inexact 0
		.amdhsa_exception_int_div_zero 0
	.end_amdhsa_kernel
	.section	.text._ZN5aiter22opus_moe_sorting_entryINS_16MoeSortingKernelINS_19MoeSortingProblemExIifLi8ELb0ELb1ELb1ELb1ELi0EEEEENS4_5KargsEEEvT0_,"axG",@progbits,_ZN5aiter22opus_moe_sorting_entryINS_16MoeSortingKernelINS_19MoeSortingProblemExIifLi8ELb0ELb1ELb1ELb1ELi0EEEEENS4_5KargsEEEvT0_,comdat
.Lfunc_end9:
	.size	_ZN5aiter22opus_moe_sorting_entryINS_16MoeSortingKernelINS_19MoeSortingProblemExIifLi8ELb0ELb1ELb1ELb1ELi0EEEEENS4_5KargsEEEvT0_, .Lfunc_end9-_ZN5aiter22opus_moe_sorting_entryINS_16MoeSortingKernelINS_19MoeSortingProblemExIifLi8ELb0ELb1ELb1ELb1ELi0EEEEENS4_5KargsEEEvT0_
                                        ; -- End function
	.section	.AMDGPU.csdata,"",@progbits
; Kernel info:
; codeLenInByte = 4388
; NumSgprs: 50
; NumVgprs: 30
; ScratchSize: 0
; MemoryBound: 0
; FloatMode: 240
; IeeeMode: 1
; LDSByteSize: 0 bytes/workgroup (compile time only)
; SGPRBlocks: 6
; VGPRBlocks: 3
; NumSGPRsForWavesPerEU: 50
; NumVGPRsForWavesPerEU: 30
; Occupancy: 16
; WaveLimiterHint : 1
; COMPUTE_PGM_RSRC2:SCRATCH_EN: 0
; COMPUTE_PGM_RSRC2:USER_SGPR: 15
; COMPUTE_PGM_RSRC2:TRAP_HANDLER: 0
; COMPUTE_PGM_RSRC2:TGID_X_EN: 1
; COMPUTE_PGM_RSRC2:TGID_Y_EN: 0
; COMPUTE_PGM_RSRC2:TGID_Z_EN: 0
; COMPUTE_PGM_RSRC2:TIDIG_COMP_CNT: 0
	.section	.text._ZN5aiter22opus_moe_sorting_entryINS_16MoeSortingKernelINS_19MoeSortingProblemExIifLi4ELb0ELb1ELb1ELb1ELi0EEEEENS4_5KargsEEEvT0_,"axG",@progbits,_ZN5aiter22opus_moe_sorting_entryINS_16MoeSortingKernelINS_19MoeSortingProblemExIifLi4ELb0ELb1ELb1ELb1ELi0EEEEENS4_5KargsEEEvT0_,comdat
	.protected	_ZN5aiter22opus_moe_sorting_entryINS_16MoeSortingKernelINS_19MoeSortingProblemExIifLi4ELb0ELb1ELb1ELb1ELi0EEEEENS4_5KargsEEEvT0_ ; -- Begin function _ZN5aiter22opus_moe_sorting_entryINS_16MoeSortingKernelINS_19MoeSortingProblemExIifLi4ELb0ELb1ELb1ELb1ELi0EEEEENS4_5KargsEEEvT0_
	.globl	_ZN5aiter22opus_moe_sorting_entryINS_16MoeSortingKernelINS_19MoeSortingProblemExIifLi4ELb0ELb1ELb1ELb1ELi0EEEEENS4_5KargsEEEvT0_
	.p2align	8
	.type	_ZN5aiter22opus_moe_sorting_entryINS_16MoeSortingKernelINS_19MoeSortingProblemExIifLi4ELb0ELb1ELb1ELb1ELi0EEEEENS4_5KargsEEEvT0_,@function
_ZN5aiter22opus_moe_sorting_entryINS_16MoeSortingKernelINS_19MoeSortingProblemExIifLi4ELb0ELb1ELb1ELb1ELi0EEEEENS4_5KargsEEEvT0_: ; @_ZN5aiter22opus_moe_sorting_entryINS_16MoeSortingKernelINS_19MoeSortingProblemExIifLi4ELb0ELb1ELb1ELb1ELi0EEEEENS4_5KargsEEEvT0_
; %bb.0:
	s_clause 0x2
	s_load_b512 s[16:31], s[0:1], 0x0
	s_load_b128 s[40:43], s[0:1], 0x40
	s_load_b128 s[36:39], s[0:1], 0x54
	s_cmp_eq_u32 s15, 0
	s_waitcnt lgkmcnt(0)
	s_load_b32 s22, s[22:23], 0x0
	s_cbranch_scc1 .LBB10_7
; %bb.1:
	s_cmp_eq_u64 s[40:41], 0
	s_cbranch_scc1 .LBB10_6
; %bb.2:
	s_waitcnt lgkmcnt(0)
	s_ashr_i32 s2, s22, 31
	s_mul_i32 s3, s38, s37
	s_mul_hi_i32 s5, s38, s37
	s_mul_i32 s2, s3, s2
	s_mul_hi_u32 s4, s3, s22
	s_mul_i32 s5, s5, s22
	s_add_i32 s2, s4, s2
	s_mul_i32 s3, s3, s22
	s_add_i32 s4, s2, s5
	v_mov_b32_e32 v2, 0
	s_ashr_i32 s2, s4, 31
	s_mov_b32 s7, 0
	s_lshr_b32 s2, s2, 28
	s_delay_alu instid0(SALU_CYCLE_1) | instskip(SKIP_2) | instid1(SALU_CYCLE_1)
	s_add_u32 s2, s3, s2
	s_addc_u32 s3, s4, 0
	s_lshl_b32 s4, s15, 8
	v_add3_u32 v1, v0, s4, 0xffffff00
	s_ashr_i64 s[4:5], s[2:3], 4
	s_mov_b32 s3, exec_lo
	s_delay_alu instid0(VALU_DEP_1)
	v_cmpx_gt_i64_e64 s[4:5], v[1:2]
	s_cbranch_execz .LBB10_5
; %bb.3:
	s_load_b32 s2, s[0:1], 0x90
	v_lshlrev_b64 v[3:4], 4, v[1:2]
	v_dual_mov_b32 v6, v2 :: v_dual_mov_b32 v5, v1
	v_mov_b32_e32 v1, v2
	s_delay_alu instid0(VALU_DEP_3) | instskip(NEXT) | instid1(VALU_DEP_4)
	v_add_co_u32 v7, vcc_lo, s40, v3
	v_add_co_ci_u32_e32 v8, vcc_lo, s41, v4, vcc_lo
	v_mov_b32_e32 v3, v2
	v_mov_b32_e32 v4, v2
	s_waitcnt lgkmcnt(0)
	s_lshl_b32 s2, s2, 8
	s_delay_alu instid0(SALU_CYCLE_1) | instskip(NEXT) | instid1(SALU_CYCLE_1)
	s_add_i32 s6, s2, 0xffffff00
	s_lshl_b64 s[8:9], s[6:7], 4
.LBB10_4:                               ; =>This Inner Loop Header: Depth=1
	v_add_co_u32 v5, vcc_lo, v5, s6
	v_add_co_ci_u32_e32 v6, vcc_lo, 0, v6, vcc_lo
	global_store_b128 v[7:8], v[1:4], off
	v_add_co_u32 v7, s2, v7, s8
	v_cmp_le_i64_e32 vcc_lo, s[4:5], v[5:6]
	v_add_co_ci_u32_e64 v8, s2, s9, v8, s2
	s_or_b32 s7, vcc_lo, s7
	s_delay_alu instid0(SALU_CYCLE_1)
	s_and_not1_b32 exec_lo, exec_lo, s7
	s_cbranch_execnz .LBB10_4
.LBB10_5:
	s_or_b32 exec_lo, exec_lo, s3
.LBB10_6:
	s_cbranch_execz .LBB10_8
	s_branch .LBB10_85
.LBB10_7:
.LBB10_8:
	s_clause 0x1
	s_load_b256 s[4:11], s[0:1], 0x64
	s_load_b64 s[12:13], s[0:1], 0x84
	v_lshrrev_b32_e32 v1, 5, v0
	v_lshlrev_b32_e32 v7, 2, v0
	s_add_i32 s34, s36, 1
	s_delay_alu instid0(VALU_DEP_2) | instskip(SKIP_2) | instid1(SALU_CYCLE_1)
	v_readfirstlane_b32 s40, v1
	s_waitcnt lgkmcnt(0)
	s_add_i32 s23, s4, -2
	s_mul_i32 s33, s23, s36
	s_delay_alu instid0(SALU_CYCLE_1) | instskip(NEXT) | instid1(VALU_DEP_1)
	v_cmp_gt_i32_e64 s0, s33, v0
	s_and_saveexec_b32 s35, s0
	s_cbranch_execz .LBB10_11
; %bb.9:
	s_lshl_b32 s1, s36, 3
	v_mad_u64_u32 v[1:2], null, v0, s12, 0
	s_add_i32 s1, s1, 0
	v_dual_mov_b32 v4, 0 :: v_dual_mov_b32 v5, v0
	v_add3_u32 v3, s1, v7, 8
	s_mov_b32 s3, 0
	s_sub_i32 s14, s34, s11
	s_mov_b32 s2, s12
	s_lshl_b32 s37, s14, 2
	s_lshl_b64 s[14:15], s[2:3], 8
	.p2align	6
.LBB10_10:                              ; =>This Inner Loop Header: Depth=1
	v_add_nc_u32_e32 v6, v5, v2
	v_add_nc_u32_e32 v5, 0x100, v5
	v_add_co_u32 v1, vcc_lo, v1, s14
	v_add_co_ci_u32_e32 v2, vcc_lo, s15, v2, vcc_lo
	s_delay_alu instid0(VALU_DEP_4) | instskip(NEXT) | instid1(VALU_DEP_4)
	v_lshrrev_b32_e32 v6, s13, v6
	v_cmp_le_i32_e64 s1, s33, v5
	s_delay_alu instid0(VALU_DEP_2) | instskip(SKIP_1) | instid1(VALU_DEP_3)
	v_mad_u64_u32 v[8:9], null, s37, v6, v[3:4]
	v_add_nc_u32_e32 v3, 0x400, v3
	s_or_b32 s3, s1, s3
	ds_store_b32 v8, v4
	s_and_not1_b32 exec_lo, exec_lo, s3
	s_cbranch_execnz .LBB10_10
.LBB10_11:
	s_or_b32 exec_lo, exec_lo, s35
	s_lshl_b32 s1, s34, 3
	s_mul_i32 s37, s8, s23
	s_add_i32 s35, s1, 0
	v_cmp_gt_i32_e32 vcc_lo, s37, v0
	s_cmp_gt_i32 s22, 0
	s_mov_b32 s3, 0
	s_cselect_b32 s39, -1, 0
	s_cmp_lt_i32 s22, 1
	s_waitcnt lgkmcnt(0)
	s_waitcnt_vscnt null, 0x0
	s_barrier
	buffer_gl0_inv
	s_cbranch_scc1 .LBB10_19
; %bb.12:
	v_mad_u64_u32 v[1:2], null, v0, s9, 0
	v_mov_b32_e32 v4, 0
	s_mov_b32 s2, s9
	s_mov_b32 s38, 0
	s_lshl_b64 s[14:15], s[2:3], 8
	s_branch .LBB10_14
.LBB10_13:                              ;   in Loop: Header=BB10_14 Depth=1
	s_set_inst_prefetch_distance 0x2
	s_or_b32 exec_lo, exec_lo, s41
	s_add_i32 s38, s38, s23
	s_add_i32 s3, s3, s37
	s_cmp_ge_i32 s38, s22
	s_waitcnt lgkmcnt(0)
	s_barrier
	buffer_gl0_inv
	s_cbranch_scc1 .LBB10_19
.LBB10_14:                              ; =>This Loop Header: Depth=1
                                        ;     Child Loop BB10_17 Depth 2
	s_and_saveexec_b32 s41, vcc_lo
	s_cbranch_execz .LBB10_13
; %bb.15:                               ;   in Loop: Header=BB10_14 Depth=1
	v_dual_mov_b32 v6, v2 :: v_dual_mov_b32 v5, v1
	v_mov_b32_e32 v8, v0
	s_mov_b32 s44, 0
	s_set_inst_prefetch_distance 0x1
	s_branch .LBB10_17
	.p2align	6
.LBB10_16:                              ;   in Loop: Header=BB10_17 Depth=2
	s_or_b32 exec_lo, exec_lo, s2
	v_add_nc_u32_e32 v8, 0x100, v8
	v_add_co_u32 v5, s2, v5, s14
	s_delay_alu instid0(VALU_DEP_1) | instskip(NEXT) | instid1(VALU_DEP_3)
	v_add_co_ci_u32_e64 v6, s2, s15, v6, s2
	v_cmp_le_i32_e64 s1, s37, v8
	s_waitcnt vmcnt(48) lgkmcnt(7)
	s_delay_alu instid0(VALU_DEP_1) | instskip(NEXT) | instid1(SALU_CYCLE_1)
	s_or_b32 s44, s1, s44
	s_and_not1_b32 exec_lo, exec_lo, s44
	s_cbranch_execz .LBB10_13
.LBB10_17:                              ;   Parent Loop BB10_14 Depth=1
                                        ; =>  This Inner Loop Header: Depth=2
	s_delay_alu instid0(VALU_DEP_1) | instskip(SKIP_1) | instid1(VALU_DEP_1)
	v_add_nc_u32_e32 v3, v8, v6
	s_mov_b32 s2, exec_lo
	v_lshrrev_b32_e32 v9, s10, v3
	s_delay_alu instid0(VALU_DEP_1) | instskip(NEXT) | instid1(VALU_DEP_1)
	v_add_nc_u32_e32 v3, s38, v9
	v_cmpx_gt_i32_e64 s22, v3
	s_cbranch_execz .LBB10_16
; %bb.18:                               ;   in Loop: Header=BB10_17 Depth=2
	v_add_nc_u32_e32 v3, s3, v8
	v_mul_lo_u32 v9, v9, s34
	s_delay_alu instid0(VALU_DEP_2) | instskip(NEXT) | instid1(VALU_DEP_2)
	v_lshlrev_b64 v[10:11], 2, v[3:4]
	v_lshlrev_b32_e32 v9, 2, v9
	s_delay_alu instid0(VALU_DEP_2) | instskip(NEXT) | instid1(VALU_DEP_1)
	v_add_co_u32 v10, s1, s16, v10
	v_add_co_ci_u32_e64 v11, s1, s17, v11, s1
	global_load_b32 v3, v[10:11], off
	s_waitcnt vmcnt(0)
	v_lshlrev_b32_e32 v3, 2, v3
	s_delay_alu instid0(VALU_DEP_1)
	v_add3_u32 v3, s35, v3, v9
	ds_load_b32 v9, v3
	s_waitcnt lgkmcnt(0)
	v_add_nc_u32_e32 v9, 1, v9
	ds_store_b32 v3, v9
	s_branch .LBB10_16
.LBB10_19:
	s_mov_b32 s1, exec_lo
	v_cmpx_eq_u32_e32 0, v0
	s_cbranch_execz .LBB10_21
; %bb.20:
	v_mov_b32_e32 v1, 0
	ds_store_b32 v1, v1
.LBB10_21:
	s_or_b32 exec_lo, exec_lo, s1
	v_and_b32_e32 v9, 7, v0
	v_lshrrev_b32_e32 v10, 3, v0
	v_mbcnt_lo_u32_b32 v12, -1, 0
	s_mov_b32 s14, 0
	s_delay_alu instid0(VALU_DEP_3) | instskip(NEXT) | instid1(VALU_DEP_3)
	v_mul_lo_u32 v1, s34, v9
	v_cmp_gt_i32_e64 s1, s36, v10
	v_lshlrev_b32_e32 v8, 2, v10
	s_delay_alu instid0(VALU_DEP_3) | instskip(NEXT) | instid1(VALU_DEP_3)
	v_lshlrev_b32_e32 v11, 2, v1
	s_and_saveexec_b32 s3, s1
	s_cbranch_execz .LBB10_29
; %bb.22:
	s_cmp_gt_i32 s4, 2
	s_mul_i32 s15, s36, 0x68
	s_mul_i32 s38, s36, 0x48
	s_cselect_b32 s4, -1, 0
	s_add_i32 s15, s15, 0
	s_add_i32 s38, s38, 0
	v_dual_mov_b32 v14, v10 :: v_dual_lshlrev_b32 v3, 2, v12
	v_add3_u32 v4, s15, v11, 0x68
	v_add3_u32 v5, s38, v11, 0x48
	s_mul_i32 s15, s36, 40
	s_lshl_b32 s38, s36, 3
	s_add_i32 s15, s15, 0
	s_add_i32 s38, s38, 0
	v_cmp_eq_u32_e64 s2, 0, v9
	v_xor_b32_e32 v1, 4, v3
	v_xor_b32_e32 v2, 8, v3
	;; [unrolled: 1-line block ×3, first 2 shown]
	v_add3_u32 v6, s15, v11, 40
	v_add3_u32 v13, s38, v11, 8
	s_lshl_b32 s15, s36, 7
	s_delay_alu instid0(SALU_CYCLE_1)
	s_addk_i32 s15, 0x80
	s_branch .LBB10_24
.LBB10_23:                              ;   in Loop: Header=BB10_24 Depth=1
	s_or_b32 exec_lo, exec_lo, s38
	v_add_nc_u32_e32 v14, 32, v14
	v_add_nc_u32_e32 v4, 0x80, v4
	;; [unrolled: 1-line block ×5, first 2 shown]
	v_cmp_le_i32_e32 vcc_lo, s36, v14
	s_or_b32 s14, vcc_lo, s14
	s_delay_alu instid0(SALU_CYCLE_1)
	s_and_not1_b32 exec_lo, exec_lo, s14
	s_cbranch_execz .LBB10_29
.LBB10_24:                              ; =>This Loop Header: Depth=1
                                        ;     Child Loop BB10_26 Depth 2
	v_mov_b32_e32 v15, 0
	s_and_not1_b32 vcc_lo, exec_lo, s4
	s_cbranch_vccnz .LBB10_27
; %bb.25:                               ;   in Loop: Header=BB10_24 Depth=1
	v_dual_mov_b32 v15, 0 :: v_dual_mov_b32 v16, v13
	v_dual_mov_b32 v17, v6 :: v_dual_mov_b32 v18, v5
	v_mov_b32_e32 v19, v4
	s_mov_b32 s38, 0
.LBB10_26:                              ;   Parent Loop BB10_24 Depth=1
                                        ; =>  This Inner Loop Header: Depth=2
	s_delay_alu instid0(VALU_DEP_3) | instskip(NEXT) | instid1(VALU_DEP_3)
	v_add_nc_u32_e32 v20, v16, v8
	v_add_nc_u32_e32 v21, v17, v8
	;; [unrolled: 1-line block ×5, first 2 shown]
	ds_load_b32 v20, v20
	ds_load_b32 v21, v21
	;; [unrolled: 1-line block ×4, first 2 shown]
	v_add_nc_u32_e32 v18, s15, v18
	v_add_nc_u32_e32 v17, s15, v17
	;; [unrolled: 1-line block ×3, first 2 shown]
	s_add_i32 s38, s38, 32
	s_delay_alu instid0(SALU_CYCLE_1)
	s_cmp_lt_i32 s38, s23
	s_waitcnt lgkmcnt(3)
	ds_bpermute_b32 v24, v1, v20
	s_waitcnt lgkmcnt(3)
	ds_bpermute_b32 v25, v1, v21
	;; [unrolled: 2-line block ×4, first 2 shown]
	s_waitcnt lgkmcnt(3)
	v_add_nc_u32_e32 v20, v24, v20
	s_waitcnt lgkmcnt(2)
	v_add_nc_u32_e32 v21, v25, v21
	;; [unrolled: 2-line block ×4, first 2 shown]
	ds_bpermute_b32 v24, v2, v20
	ds_bpermute_b32 v25, v2, v21
	;; [unrolled: 1-line block ×4, first 2 shown]
	s_waitcnt lgkmcnt(3)
	v_add_nc_u32_e32 v20, v24, v20
	s_waitcnt lgkmcnt(2)
	v_add_nc_u32_e32 v21, v25, v21
	;; [unrolled: 2-line block ×4, first 2 shown]
	ds_bpermute_b32 v24, v3, v20
	ds_bpermute_b32 v25, v3, v21
	;; [unrolled: 1-line block ×4, first 2 shown]
	s_waitcnt lgkmcnt(3)
	v_add3_u32 v15, v20, v15, v24
	s_waitcnt lgkmcnt(2)
	s_delay_alu instid0(VALU_DEP_1) | instskip(SKIP_1) | instid1(VALU_DEP_1)
	v_add3_u32 v15, v15, v21, v25
	s_waitcnt lgkmcnt(1)
	v_add3_u32 v15, v15, v22, v26
	s_waitcnt lgkmcnt(0)
	s_delay_alu instid0(VALU_DEP_1)
	v_add3_u32 v15, v15, v23, v27
	s_cbranch_scc1 .LBB10_26
.LBB10_27:                              ;   in Loop: Header=BB10_24 Depth=1
	s_and_saveexec_b32 s38, s2
	s_cbranch_execz .LBB10_23
; %bb.28:                               ;   in Loop: Header=BB10_24 Depth=1
	v_lshl_add_u32 v16, v14, 2, 0
	ds_store_b32 v16, v15 offset:4
	s_branch .LBB10_23
.LBB10_29:
	s_or_b32 exec_lo, exec_lo, s3
	s_lshl_b32 s14, s36, 2
	v_cmp_gt_i32_e64 s2, s36, v0
	s_add_i32 s15, s14, 0
	s_delay_alu instid0(SALU_CYCLE_1)
	v_dual_mov_b32 v1, 0 :: v_dual_mov_b32 v2, s15
	s_mov_b32 s4, 0
	ds_store_b32 v2, v1 offset:4
	s_and_saveexec_b32 s38, s2
	s_cbranch_execz .LBB10_32
; %bb.30:
	v_add_co_u32 v1, s3, s20, v7
	v_add3_u32 v3, s15, v7, 8
	v_add_co_ci_u32_e64 v2, null, s21, 0, s3
	v_mov_b32_e32 v4, v0
	.p2align	6
.LBB10_31:                              ; =>This Inner Loop Header: Depth=1
	global_load_b32 v5, v[1:2], off
	v_add_nc_u32_e32 v4, 0x100, v4
	v_add_co_u32 v1, vcc_lo, 0x400, v1
	v_add_co_ci_u32_e32 v2, vcc_lo, 0, v2, vcc_lo
	s_delay_alu instid0(VALU_DEP_3) | instskip(NEXT) | instid1(VALU_DEP_1)
	v_cmp_le_i32_e64 s3, s36, v4
	s_or_b32 s4, s3, s4
	s_waitcnt vmcnt(0)
	ds_store_b32 v3, v5
	v_add_nc_u32_e32 v3, 0x400, v3
	s_and_not1_b32 exec_lo, exec_lo, s4
	s_cbranch_execnz .LBB10_31
.LBB10_32:
	s_or_b32 exec_lo, exec_lo, s38
	s_add_i32 s38, s15, 4
	s_cmp_lg_u32 s40, 0
	s_mov_b32 s40, 0
	s_waitcnt lgkmcnt(0)
	s_barrier
	buffer_gl0_inv
	s_cbranch_scc1 .LBB10_43
; %bb.33:
	v_mov_b32_e32 v1, 0
	s_cmp_lt_i32 s36, 1
	s_cbranch_scc1 .LBB10_40
; %bb.34:
	v_lshlrev_b32_e32 v1, 2, v12
	v_cmp_eq_u32_e32 vcc_lo, 0, v12
	v_cmp_lt_u32_e64 s3, 15, v12
	s_add_i32 s41, s5, -1
	s_delay_alu instid0(VALU_DEP_3) | instskip(SKIP_1) | instid1(VALU_DEP_2)
	v_and_b32_e32 v2, 64, v1
	v_add_nc_u32_e32 v3, 0, v1
	v_add_nc_u32_e32 v2, -4, v2
	s_branch .LBB10_36
.LBB10_35:                              ;   in Loop: Header=BB10_36 Depth=1
	s_or_b32 exec_lo, exec_lo, s44
	v_add_nc_u32_e32 v3, 0x80, v3
	s_add_i32 s40, s40, 32
	s_waitcnt vmcnt(48) lgkmcnt(7)
	s_cmp_lt_i32 s40, s36
	s_cbranch_scc0 .LBB10_40
.LBB10_36:                              ; =>This Inner Loop Header: Depth=1
	ds_load_b32 v1, v3 offset:4
	v_add_nc_u32_e32 v4, s14, v3
	s_waitcnt lgkmcnt(1)
	v_cndmask_b32_e64 v6, 0, s40, vcc_lo
	ds_load_b32 v5, v4 offset:8
	v_lshlrev_b32_e32 v6, 2, v6
	s_delay_alu instid0(VALU_DEP_1) | instskip(SKIP_4) | instid1(VALU_DEP_1)
	v_add_nc_u32_e32 v14, 0, v6
	v_add_nc_u32_e32 v6, s38, v6
	ds_load_b32 v6, v6
	s_waitcnt lgkmcnt(2)
	v_add_nc_u32_e32 v1, s41, v1
	v_mul_hi_u32 v13, v1, s6
	s_waitcnt lgkmcnt(1)
	v_cmp_ne_u32_e64 s4, 0, v5
	s_delay_alu instid0(VALU_DEP_2) | instskip(SKIP_3) | instid1(VALU_DEP_1)
	v_add_nc_u32_e32 v1, v1, v13
	ds_load_b32 v13, v14
	v_add_nc_u32_e32 v14, s40, v12
	v_lshrrev_b32_e32 v1, s7, v1
	v_mul_lo_u32 v1, v1, s5
	s_delay_alu instid0(VALU_DEP_1) | instskip(NEXT) | instid1(VALU_DEP_4)
	v_cndmask_b32_e64 v1, 0, v1, s4
	v_cmp_gt_i32_e64 s4, s36, v14
	s_waitcnt lgkmcnt(0)
	s_delay_alu instid0(VALU_DEP_2) | instskip(NEXT) | instid1(VALU_DEP_1)
	v_add_nc_u32_e32 v1, v1, v13
	v_add_nc_u32_dpp v1, v1, v1 row_shr:1 row_mask:0xf bank_mask:0xf bound_ctrl:1
	s_delay_alu instid0(VALU_DEP_1) | instskip(NEXT) | instid1(VALU_DEP_1)
	v_add_nc_u32_dpp v1, v1, v1 row_shr:2 row_mask:0xf bank_mask:0xf bound_ctrl:1
	v_add_nc_u32_dpp v1, v1, v1 row_shr:4 row_mask:0xf bank_mask:0xf bound_ctrl:1
	s_delay_alu instid0(VALU_DEP_1) | instskip(SKIP_3) | instid1(VALU_DEP_1)
	v_add_nc_u32_dpp v1, v1, v1 row_shr:8 row_mask:0xf bank_mask:0xf bound_ctrl:1
	ds_bpermute_b32 v13, v2, v1
	s_waitcnt lgkmcnt(0)
	v_cndmask_b32_e64 v13, 0, v13, s3
	v_add_nc_u32_e32 v1, v1, v13
	s_and_saveexec_b32 s44, s4
	s_cbranch_execz .LBB10_38
; %bb.37:                               ;   in Loop: Header=BB10_36 Depth=1
	ds_store_b32 v3, v1 offset:4
.LBB10_38:                              ;   in Loop: Header=BB10_36 Depth=1
	s_or_b32 exec_lo, exec_lo, s44
	v_add_nc_u32_e32 v5, v5, v6
	s_delay_alu instid0(VALU_DEP_1) | instskip(NEXT) | instid1(VALU_DEP_1)
	v_add_nc_u32_dpp v5, v5, v5 row_shr:1 row_mask:0xf bank_mask:0xf bound_ctrl:1
	v_add_nc_u32_dpp v5, v5, v5 row_shr:2 row_mask:0xf bank_mask:0xf bound_ctrl:1
	s_delay_alu instid0(VALU_DEP_1) | instskip(NEXT) | instid1(VALU_DEP_1)
	v_add_nc_u32_dpp v5, v5, v5 row_shr:4 row_mask:0xf bank_mask:0xf bound_ctrl:1
	v_add_nc_u32_dpp v5, v5, v5 row_shr:8 row_mask:0xf bank_mask:0xf bound_ctrl:1
	ds_bpermute_b32 v6, v2, v5
	s_and_saveexec_b32 s44, s4
	s_cbranch_execz .LBB10_35
; %bb.39:                               ;   in Loop: Header=BB10_36 Depth=1
	s_waitcnt lgkmcnt(0)
	v_cndmask_b32_e64 v6, 0, v6, s3
	s_delay_alu instid0(VALU_DEP_1)
	v_add_nc_u32_e32 v5, v6, v5
	ds_store_b32 v4, v5 offset:8
	s_branch .LBB10_35
.LBB10_40:
	v_add3_u32 v2, v12, s40, 0xffffffe1
	s_mov_b32 s3, exec_lo
	s_delay_alu instid0(VALU_DEP_1)
	v_cmpx_eq_u32_e64 s36, v2
	s_cbranch_execz .LBB10_42
; %bb.41:
	v_dual_mov_b32 v3, 0 :: v_dual_mov_b32 v2, s22
	global_store_b64 v3, v[1:2], s[30:31]
.LBB10_42:
	s_or_b32 exec_lo, exec_lo, s3
.LBB10_43:
	s_cmp_eq_u64 s[42:43], 0
	s_waitcnt lgkmcnt(0)
	s_waitcnt_vscnt null, 0x0
	s_barrier
	buffer_gl0_inv
	s_cbranch_scc1 .LBB10_50
; %bb.44:
	s_mul_i32 s4, s22, s8
	s_mov_b32 s30, exec_lo
	v_cmpx_gt_i32_e64 s4, v0
	s_cbranch_execz .LBB10_49
; %bb.45:
	v_add_co_u32 v1, s3, s16, v7
	s_delay_alu instid0(VALU_DEP_1) | instskip(SKIP_1) | instid1(VALU_DEP_1)
	v_add_co_ci_u32_e64 v2, null, s17, 0, s3
	v_add_co_u32 v3, s3, s42, v7
	v_add_co_ci_u32_e64 v4, null, s43, 0, s3
	v_mov_b32_e32 v13, v0
	s_mov_b32 s31, 0
	s_set_inst_prefetch_distance 0x1
	s_branch .LBB10_47
	.p2align	6
.LBB10_46:                              ;   in Loop: Header=BB10_47 Depth=1
	s_or_b32 exec_lo, exec_lo, s3
	v_add_nc_u32_e32 v13, 0x100, v13
	v_add_co_u32 v1, vcc_lo, 0x400, v1
	v_add_co_ci_u32_e32 v2, vcc_lo, 0, v2, vcc_lo
	s_waitcnt lgkmcnt(0)
	global_store_b32 v[3:4], v6, off
	v_cmp_le_i32_e32 vcc_lo, s4, v13
	v_add_co_u32 v3, s3, 0x400, v3
	s_delay_alu instid0(VALU_DEP_1) | instskip(SKIP_1) | instid1(SALU_CYCLE_1)
	v_add_co_ci_u32_e64 v4, s3, 0, v4, s3
	s_or_b32 s31, vcc_lo, s31
	s_and_not1_b32 exec_lo, exec_lo, s31
	s_cbranch_execz .LBB10_49
.LBB10_47:                              ; =>This Inner Loop Header: Depth=1
	global_load_b32 v5, v[1:2], off
	s_waitcnt vmcnt(0)
	v_ashrrev_i32_e32 v6, 31, v5
	s_delay_alu instid0(VALU_DEP_1) | instskip(NEXT) | instid1(VALU_DEP_1)
	v_lshlrev_b64 v[14:15], 2, v[5:6]
	v_add_co_u32 v14, vcc_lo, s20, v14
	s_delay_alu instid0(VALU_DEP_2)
	v_add_co_ci_u32_e32 v15, vcc_lo, s21, v15, vcc_lo
	global_load_b32 v6, v[14:15], off
	s_waitcnt vmcnt(0)
	v_cmp_ne_u32_e32 vcc_lo, 0, v6
	v_mov_b32_e32 v6, -1
	s_and_saveexec_b32 s3, vcc_lo
	s_cbranch_execz .LBB10_46
; %bb.48:                               ;   in Loop: Header=BB10_47 Depth=1
	v_lshl_add_u32 v5, v5, 2, s38
	ds_load_b32 v6, v5
	s_branch .LBB10_46
.LBB10_49:
	s_set_inst_prefetch_distance 0x2
	s_or_b32 exec_lo, exec_lo, s30
	s_waitcnt_vscnt null, 0x0
	s_barrier
	buffer_gl0_inv
.LBB10_50:
	s_and_saveexec_b32 s4, s2
	s_cbranch_execz .LBB10_57
; %bb.51:
	v_dual_mov_b32 v2, 0 :: v_dual_mov_b32 v3, v0
	s_mov_b32 s30, 0
	s_branch .LBB10_53
.LBB10_52:                              ;   in Loop: Header=BB10_53 Depth=1
	s_or_b32 exec_lo, exec_lo, s31
	v_add_nc_u32_e32 v3, 0x100, v3
	s_delay_alu instid0(VALU_DEP_1) | instskip(SKIP_1) | instid1(SALU_CYCLE_1)
	v_cmp_le_i32_e32 vcc_lo, s36, v3
	s_or_b32 s30, vcc_lo, s30
	s_and_not1_b32 exec_lo, exec_lo, s30
	s_cbranch_execz .LBB10_57
.LBB10_53:                              ; =>This Loop Header: Depth=1
                                        ;     Child Loop BB10_56 Depth 2
	s_delay_alu instid0(VALU_DEP_1) | instskip(SKIP_1) | instid1(VALU_DEP_1)
	v_lshlrev_b32_e32 v1, 2, v3
	s_mov_b32 s31, exec_lo
	v_add_nc_u32_e32 v4, 0, v1
	v_add_nc_u32_e32 v1, s38, v1
	ds_load_2addr_b32 v[5:6], v4 offset1:1
	s_waitcnt lgkmcnt(2)
	ds_load_b32 v13, v1
	s_waitcnt lgkmcnt(1)
	ds_store_b32 v1, v5
	v_cmpx_ne_u32_e64 v5, v6
	s_cbranch_execz .LBB10_52
; %bb.54:                               ;   in Loop: Header=BB10_53 Depth=1
	v_mov_b32_e32 v4, v2
	v_cmp_lt_i32_e64 s3, v5, v6
	s_delay_alu instid0(VALU_DEP_2) | instskip(NEXT) | instid1(VALU_DEP_1)
	v_lshlrev_b64 v[14:15], 2, v[3:4]
	v_add_co_u32 v14, vcc_lo, s20, v14
	s_delay_alu instid0(VALU_DEP_2) | instskip(SKIP_4) | instid1(SALU_CYCLE_1)
	v_add_co_ci_u32_e32 v15, vcc_lo, s21, v15, vcc_lo
	global_load_b32 v1, v[14:15], off
	s_waitcnt vmcnt(0)
	v_cmp_ne_u32_e32 vcc_lo, 0, v1
	s_and_b32 s3, s3, vcc_lo
	s_and_b32 exec_lo, exec_lo, s3
	s_cbranch_execz .LBB10_52
; %bb.55:                               ;   in Loop: Header=BB10_53 Depth=1
	s_mov_b32 s40, 0
	.p2align	6
.LBB10_56:                              ;   Parent Loop BB10_53 Depth=1
                                        ; =>  This Inner Loop Header: Depth=2
	v_mul_hi_u32 v1, s6, v5
	s_delay_alu instid0(VALU_DEP_1) | instskip(SKIP_1) | instid1(VALU_DEP_2)
	v_add_nc_u32_e32 v1, v5, v1
	v_add_nc_u32_e32 v5, s5, v5
	v_lshrrev_b32_e32 v1, s7, v1
	s_delay_alu instid0(VALU_DEP_2) | instskip(NEXT) | instid1(VALU_DEP_2)
	v_cmp_ge_i32_e32 vcc_lo, v5, v6
	v_lshlrev_b64 v[14:15], 2, v[1:2]
	s_or_b32 s40, vcc_lo, s40
	s_delay_alu instid0(VALU_DEP_1) | instskip(NEXT) | instid1(VALU_DEP_1)
	v_add_co_u32 v14, s3, s28, v14
	v_add_co_ci_u32_e64 v15, s3, s29, v15, s3
	s_waitcnt lgkmcnt(1)
	global_store_b32 v[14:15], v13, off
	s_and_not1_b32 exec_lo, exec_lo, s40
	s_cbranch_execnz .LBB10_56
	s_branch .LBB10_52
.LBB10_57:
	s_or_b32 exec_lo, exec_lo, s4
	s_add_i32 s3, s15, s14
	s_delay_alu instid0(SALU_CYCLE_1)
	v_dual_mov_b32 v1, s15 :: v_dual_mov_b32 v2, s3
	s_waitcnt lgkmcnt(0)
	s_waitcnt_vscnt null, 0x0
	s_barrier
	buffer_gl0_inv
	ds_load_b32 v1, v1
	s_and_not1_b32 vcc_lo, exec_lo, s39
	s_waitcnt lgkmcnt(0)
	ds_store_b32 v2, v1 offset:4
	s_cbranch_vccnz .LBB10_79
; %bb.58:
	s_sub_i32 s5, s34, s11
	s_add_u32 s11, s24, -4
	s_addc_u32 s28, s25, -1
	s_add_u32 s29, s18, -4
	s_addc_u32 s30, s19, -1
	v_dual_mov_b32 v6, 0 :: v_dual_and_b32 v1, 8, v12
	s_add_u32 s31, s26, -4
	s_addc_u32 s39, s27, -1
	s_lshl_b32 s18, s36, 3
	s_delay_alu instid0(VALU_DEP_1)
	v_cmp_eq_u32_e64 s4, 0, v1
	v_add3_u32 v5, v11, s18, v8
	v_mad_u64_u32 v[1:2], null, v0, s12, 0
	v_mad_u64_u32 v[3:4], null, v0, s9, 0
	v_mul_lo_u32 v11, s8, v9
	s_add_i32 s14, s18, 0
	s_mov_b32 s7, 0
	v_cmp_gt_i32_e32 vcc_lo, s37, v0
	v_cmp_gt_i32_e64 s3, s23, v9
	v_or_b32_e32 v12, 28, v7
	v_add3_u32 v13, s14, v7, 8
	v_add3_u32 v14, v5, 0, 8
	s_mov_b32 s6, s12
	s_mov_b32 s42, s9
	;; [unrolled: 1-line block ×3, first 2 shown]
	s_lshl_b32 s41, s36, 5
	s_lshl_b32 s40, s5, 2
	s_lshl_b64 s[14:15], s[6:7], 8
	s_sub_i32 s12, 0, s8
	s_lshl_b64 s[18:19], s[42:43], 8
	s_lshl_b32 s9, s8, 3
	s_add_i32 s41, s41, 32
	s_mov_b32 s42, s7
	s_branch .LBB10_60
.LBB10_59:                              ;   in Loop: Header=BB10_60 Depth=1
	s_or_b32 exec_lo, exec_lo, s43
	v_add_nc_u32_e32 v11, s37, v11
	s_add_i32 s42, s42, s23
	s_add_i32 s7, s7, s37
	s_cmp_ge_i32 s42, s22
	s_waitcnt lgkmcnt(0)
	s_waitcnt_vscnt null, 0x0
	s_barrier
	buffer_gl0_inv
	s_cbranch_scc1 .LBB10_79
.LBB10_60:                              ; =>This Loop Header: Depth=1
                                        ;     Child Loop BB10_62 Depth 2
                                        ;     Child Loop BB10_66 Depth 2
	;; [unrolled: 1-line block ×3, first 2 shown]
                                        ;       Child Loop BB10_77 Depth 3
	s_and_saveexec_b32 s43, s0
	s_cbranch_execz .LBB10_63
; %bb.61:                               ;   in Loop: Header=BB10_60 Depth=1
	v_dual_mov_b32 v8, v2 :: v_dual_mov_b32 v7, v1
	v_mov_b32_e32 v5, v13
	v_mov_b32_e32 v15, v0
	s_mov_b32 s44, 0
	.p2align	6
.LBB10_62:                              ;   Parent Loop BB10_60 Depth=1
                                        ; =>  This Inner Loop Header: Depth=2
	s_delay_alu instid0(VALU_DEP_1) | instskip(SKIP_2) | instid1(VALU_DEP_1)
	v_add_nc_u32_e32 v16, v15, v8
	v_add_nc_u32_e32 v15, 0x100, v15
	v_add_co_u32 v7, s5, v7, s14
	v_add_co_ci_u32_e64 v8, s5, s15, v8, s5
	s_delay_alu instid0(VALU_DEP_4) | instskip(NEXT) | instid1(VALU_DEP_4)
	v_lshrrev_b32_e32 v18, s13, v16
	v_cmp_le_i32_e64 s6, s33, v15
	s_delay_alu instid0(VALU_DEP_2) | instskip(SKIP_1) | instid1(VALU_DEP_3)
	v_mad_u64_u32 v[16:17], null, s40, v18, v[5:6]
	v_add_nc_u32_e32 v5, 0x400, v5
	s_or_b32 s44, s6, s44
	ds_store_b32 v16, v6
	s_and_not1_b32 exec_lo, exec_lo, s44
	s_cbranch_execnz .LBB10_62
.LBB10_63:                              ;   in Loop: Header=BB10_60 Depth=1
	s_or_b32 exec_lo, exec_lo, s43
	s_waitcnt lgkmcnt(0)
	s_barrier
	buffer_gl0_inv
	s_and_saveexec_b32 s43, vcc_lo
	s_cbranch_execz .LBB10_68
; %bb.64:                               ;   in Loop: Header=BB10_60 Depth=1
	v_dual_mov_b32 v8, v4 :: v_dual_mov_b32 v7, v3
	v_mov_b32_e32 v5, v0
	s_mov_b32 s44, 0
	s_set_inst_prefetch_distance 0x1
	s_branch .LBB10_66
	.p2align	6
.LBB10_65:                              ;   in Loop: Header=BB10_66 Depth=2
	s_or_b32 exec_lo, exec_lo, s6
	v_add_nc_u32_e32 v5, 0x100, v5
	v_add_co_u32 v7, s6, v7, s18
	s_delay_alu instid0(VALU_DEP_1) | instskip(NEXT) | instid1(VALU_DEP_3)
	v_add_co_ci_u32_e64 v8, s6, s19, v8, s6
	v_cmp_le_i32_e64 s5, s37, v5
	s_delay_alu instid0(VALU_DEP_1) | instskip(NEXT) | instid1(SALU_CYCLE_1)
	s_or_b32 s44, s5, s44
	s_and_not1_b32 exec_lo, exec_lo, s44
	s_cbranch_execz .LBB10_68
.LBB10_66:                              ;   Parent Loop BB10_60 Depth=1
                                        ; =>  This Inner Loop Header: Depth=2
	s_delay_alu instid0(VALU_DEP_1) | instskip(SKIP_1) | instid1(VALU_DEP_1)
	v_add_nc_u32_e32 v15, v5, v8
	s_mov_b32 s6, exec_lo
	v_lshrrev_b32_e32 v15, s10, v15
	s_delay_alu instid0(VALU_DEP_1) | instskip(NEXT) | instid1(VALU_DEP_1)
	v_add_nc_u32_e32 v16, s42, v15
	v_cmpx_gt_i32_e64 s22, v16
	s_cbranch_execz .LBB10_65
; %bb.67:                               ;   in Loop: Header=BB10_66 Depth=2
	v_add_nc_u32_e32 v16, s7, v5
	s_delay_alu instid0(VALU_DEP_1) | instskip(NEXT) | instid1(VALU_DEP_1)
	v_ashrrev_i32_e32 v17, 31, v16
	v_lshlrev_b64 v[16:17], 2, v[16:17]
	s_delay_alu instid0(VALU_DEP_1) | instskip(NEXT) | instid1(VALU_DEP_1)
	v_add_co_u32 v16, s5, s16, v16
	v_add_co_ci_u32_e64 v17, s5, s17, v17, s5
	global_load_b32 v16, v[16:17], off
	v_mul_lo_u32 v17, v15, s34
	v_mul_lo_u32 v15, s12, v15
	s_delay_alu instid0(VALU_DEP_2) | instskip(NEXT) | instid1(VALU_DEP_2)
	v_lshlrev_b32_e32 v17, 2, v17
	v_add3_u32 v15, v5, v15, 1
	s_waitcnt vmcnt(0)
	v_lshlrev_b32_e32 v16, 2, v16
	s_delay_alu instid0(VALU_DEP_1)
	v_add3_u32 v16, s35, v16, v17
	ds_store_b32 v16, v15
	s_branch .LBB10_65
.LBB10_68:                              ;   in Loop: Header=BB10_60 Depth=1
	s_set_inst_prefetch_distance 0x2
	s_or_b32 exec_lo, exec_lo, s43
	s_waitcnt lgkmcnt(0)
	s_barrier
	buffer_gl0_inv
	s_and_saveexec_b32 s43, s1
	s_cbranch_execz .LBB10_59
; %bb.69:                               ;   in Loop: Header=BB10_60 Depth=1
	v_mov_b32_e32 v7, v14
	v_mov_b32_e32 v5, v10
	s_mov_b32 s44, 0
	s_branch .LBB10_73
.LBB10_70:                              ;   in Loop: Header=BB10_73 Depth=2
	s_or_b32 exec_lo, exec_lo, s47
.LBB10_71:                              ;   in Loop: Header=BB10_73 Depth=2
	s_delay_alu instid0(SALU_CYCLE_1)
	s_or_b32 exec_lo, exec_lo, s46
	s_waitcnt lgkmcnt(0)
	ds_store_b32 v8, v15
.LBB10_72:                              ;   in Loop: Header=BB10_73 Depth=2
	s_or_b32 exec_lo, exec_lo, s45
	v_add_nc_u32_e32 v5, 32, v5
	v_add_nc_u32_e32 v7, 0x80, v7
	s_delay_alu instid0(VALU_DEP_2) | instskip(NEXT) | instid1(VALU_DEP_1)
	v_cmp_le_i32_e64 s5, s36, v5
	s_or_b32 s44, s5, s44
	s_delay_alu instid0(SALU_CYCLE_1)
	s_and_not1_b32 exec_lo, exec_lo, s44
	s_cbranch_execz .LBB10_59
.LBB10_73:                              ;   Parent Loop BB10_60 Depth=1
                                        ; =>  This Loop Header: Depth=2
                                        ;       Child Loop BB10_77 Depth 3
	s_delay_alu instid0(VALU_DEP_1) | instskip(SKIP_1) | instid1(VALU_DEP_1)
	v_lshlrev_b64 v[15:16], 2, v[5:6]
	s_mov_b32 s45, exec_lo
	v_add_co_u32 v15, s5, s20, v15
	s_delay_alu instid0(VALU_DEP_1)
	v_add_co_ci_u32_e64 v16, s5, s21, v16, s5
	global_load_b32 v8, v[15:16], off
	s_waitcnt vmcnt(0)
	v_cmpx_ne_u32_e32 0, v8
	s_cbranch_execz .LBB10_72
; %bb.74:                               ;   in Loop: Header=BB10_73 Depth=2
	v_lshl_add_u32 v8, v5, 2, 0
	ds_load_b32 v15, v8
	s_and_saveexec_b32 s46, s3
	s_cbranch_execz .LBB10_71
; %bb.75:                               ;   in Loop: Header=BB10_73 Depth=2
	v_mov_b32_e32 v16, v7
	v_dual_mov_b32 v17, v11 :: v_dual_mov_b32 v18, v9
	s_mov_b32 s47, 0
	s_branch .LBB10_77
.LBB10_76:                              ;   in Loop: Header=BB10_77 Depth=3
	s_or_b32 exec_lo, exec_lo, s6
	ds_bpermute_b32 v19, v12, v19
	v_add_nc_u32_e32 v18, 8, v18
	v_add_nc_u32_e32 v17, s9, v17
	;; [unrolled: 1-line block ×3, first 2 shown]
	s_delay_alu instid0(VALU_DEP_3) | instskip(NEXT) | instid1(VALU_DEP_1)
	v_cmp_le_i32_e64 s5, s23, v18
	s_or_b32 s47, s5, s47
	s_waitcnt lgkmcnt(0)
	v_add_nc_u32_e32 v15, v19, v15
	s_and_not1_b32 exec_lo, exec_lo, s47
	s_cbranch_execz .LBB10_70
.LBB10_77:                              ;   Parent Loop BB10_60 Depth=1
                                        ;     Parent Loop BB10_73 Depth=2
                                        ; =>    This Inner Loop Header: Depth=3
	ds_load_b32 v20, v16
	s_waitcnt lgkmcnt(0)
	v_cmp_ne_u32_e64 s5, 0, v20
	s_delay_alu instid0(VALU_DEP_1) | instskip(NEXT) | instid1(VALU_DEP_1)
	v_cndmask_b32_e64 v19, 0, 1, s5
	v_mov_b32_dpp v19, v19 row_shr:1 row_mask:0xf bank_mask:0xf bound_ctrl:1
	s_delay_alu instid0(VALU_DEP_1) | instskip(NEXT) | instid1(VALU_DEP_1)
	v_add_co_ci_u32_e64 v21, s6, 0, v19, s5
	v_mov_b32_dpp v21, v21 row_shr:2 row_mask:0xf bank_mask:0xf bound_ctrl:1
	s_delay_alu instid0(VALU_DEP_1) | instskip(NEXT) | instid1(VALU_DEP_1)
	v_add_co_ci_u32_e64 v19, s6, v21, v19, s5
	v_add_nc_u32_dpp v19, v19, v19 row_shr:4 row_mask:0xf bank_mask:0xf bound_ctrl:1
	s_delay_alu instid0(VALU_DEP_1) | instskip(NEXT) | instid1(VALU_DEP_1)
	v_add_nc_u32_dpp v19, v19, v19 row_shr:8 row_mask:0xf bank_mask:0xf bound_ctrl:1
	v_mov_b32_dpp v21, v19 row_share:7 row_mask:0xf bank_mask:0xf bound_ctrl:1
	s_delay_alu instid0(VALU_DEP_1) | instskip(NEXT) | instid1(VALU_DEP_1)
	v_cndmask_b32_e64 v21, v21, 0, s4
	v_sub_nc_u32_e32 v19, v19, v21
	s_and_saveexec_b32 s6, s5
	s_cbranch_execz .LBB10_76
; %bb.78:                               ;   in Loop: Header=BB10_77 Depth=3
	v_add_nc_u32_e32 v21, v17, v20
	v_add_nc_u32_e32 v23, s42, v18
	s_delay_alu instid0(VALU_DEP_2) | instskip(NEXT) | instid1(VALU_DEP_2)
	v_ashrrev_i32_e32 v22, 31, v21
	v_perm_b32 v23, v20, v23, 0x4020100
	s_delay_alu instid0(VALU_DEP_2) | instskip(NEXT) | instid1(VALU_DEP_2)
	v_lshlrev_b64 v[21:22], 2, v[21:22]
	v_add_nc_u32_e32 v25, 0xff000000, v23
	s_delay_alu instid0(VALU_DEP_2) | instskip(NEXT) | instid1(VALU_DEP_1)
	v_add_co_u32 v21, s5, s29, v21
	v_add_co_ci_u32_e64 v22, s5, s30, v22, s5
	global_load_b32 v24, v[21:22], off
	v_add_nc_u32_e32 v21, v19, v15
	s_delay_alu instid0(VALU_DEP_1) | instskip(NEXT) | instid1(VALU_DEP_1)
	v_ashrrev_i32_e32 v22, 31, v21
	v_lshlrev_b64 v[20:21], 2, v[21:22]
	s_delay_alu instid0(VALU_DEP_1) | instskip(NEXT) | instid1(VALU_DEP_1)
	v_add_co_u32 v22, s5, s11, v20
	v_add_co_ci_u32_e64 v23, s5, s28, v21, s5
	v_add_co_u32 v20, s5, s31, v20
	s_delay_alu instid0(VALU_DEP_1)
	v_add_co_ci_u32_e64 v21, s5, s39, v21, s5
	global_store_b32 v[22:23], v25, off
	s_waitcnt vmcnt(0)
	global_store_b32 v[20:21], v24, off
	s_branch .LBB10_76
.LBB10_79:
	s_and_saveexec_b32 s0, s2
	s_cbranch_execz .LBB10_85
; %bb.80:
	v_mov_b32_e32 v6, 0
	s_and_b32 s0, s22, 0xffffff
	s_lshl_b32 s1, s8, 24
	s_add_i32 s38, s38, 4
	s_or_b32 s1, s0, s1
	s_mov_b32 s2, 0
	s_set_inst_prefetch_distance 0x1
	s_branch .LBB10_82
	.p2align	6
.LBB10_81:                              ;   in Loop: Header=BB10_82 Depth=1
	s_or_b32 exec_lo, exec_lo, s3
	v_add_nc_u32_e32 v0, 0x100, v0
	s_delay_alu instid0(VALU_DEP_1) | instskip(SKIP_1) | instid1(SALU_CYCLE_1)
	v_cmp_le_i32_e32 vcc_lo, s36, v0
	s_or_b32 s2, vcc_lo, s2
	s_and_not1_b32 exec_lo, exec_lo, s2
	s_cbranch_execz .LBB10_85
.LBB10_82:                              ; =>This Loop Header: Depth=1
                                        ;     Child Loop BB10_84 Depth 2
	v_lshlrev_b32_e32 v1, 2, v0
	s_mov_b32 s3, exec_lo
	s_delay_alu instid0(VALU_DEP_1)
	v_add_nc_u32_e32 v2, 0, v1
	v_add_nc_u32_e32 v3, s38, v1
	ds_load_b32 v1, v2
	ds_load_b32 v7, v3
	s_waitcnt lgkmcnt(0)
	v_cmpx_lt_i32_e64 v1, v7
	s_cbranch_execz .LBB10_81
; %bb.83:                               ;   in Loop: Header=BB10_82 Depth=1
	v_ashrrev_i32_e32 v2, 31, v1
	s_mov_b32 s4, 0
	s_delay_alu instid0(VALU_DEP_1) | instskip(NEXT) | instid1(VALU_DEP_1)
	v_lshlrev_b64 v[4:5], 2, v[1:2]
	v_add_co_u32 v2, vcc_lo, s24, v4
	s_delay_alu instid0(VALU_DEP_2)
	v_add_co_ci_u32_e32 v3, vcc_lo, s25, v5, vcc_lo
	v_add_co_u32 v4, vcc_lo, s26, v4
	v_add_co_ci_u32_e32 v5, vcc_lo, s27, v5, vcc_lo
	.p2align	6
.LBB10_84:                              ;   Parent Loop BB10_82 Depth=1
                                        ; =>  This Inner Loop Header: Depth=2
	v_dual_mov_b32 v8, s1 :: v_dual_add_nc_u32 v1, 1, v1
	global_store_b32 v[4:5], v6, off
	v_add_co_u32 v4, vcc_lo, v4, 4
	v_add_co_ci_u32_e32 v5, vcc_lo, 0, v5, vcc_lo
	global_store_b32 v[2:3], v8, off
	v_cmp_ge_i32_e32 vcc_lo, v1, v7
	v_add_co_u32 v2, s0, v2, 4
	s_delay_alu instid0(VALU_DEP_1) | instskip(SKIP_1) | instid1(SALU_CYCLE_1)
	v_add_co_ci_u32_e64 v3, s0, 0, v3, s0
	s_or_b32 s4, vcc_lo, s4
	s_and_not1_b32 exec_lo, exec_lo, s4
	s_cbranch_execnz .LBB10_84
	s_branch .LBB10_81
.LBB10_85:
	s_set_inst_prefetch_distance 0x2
	s_nop 0
	s_sendmsg sendmsg(MSG_DEALLOC_VGPRS)
	s_endpgm
	.section	.rodata,"a",@progbits
	.p2align	6, 0x0
	.amdhsa_kernel _ZN5aiter22opus_moe_sorting_entryINS_16MoeSortingKernelINS_19MoeSortingProblemExIifLi4ELb0ELb1ELb1ELb1ELi0EEEEENS4_5KargsEEEvT0_
		.amdhsa_group_segment_fixed_size 0
		.amdhsa_private_segment_fixed_size 0
		.amdhsa_kernarg_size 400
		.amdhsa_user_sgpr_count 15
		.amdhsa_user_sgpr_dispatch_ptr 0
		.amdhsa_user_sgpr_queue_ptr 0
		.amdhsa_user_sgpr_kernarg_segment_ptr 1
		.amdhsa_user_sgpr_dispatch_id 0
		.amdhsa_user_sgpr_private_segment_size 0
		.amdhsa_wavefront_size32 1
		.amdhsa_uses_dynamic_stack 0
		.amdhsa_enable_private_segment 0
		.amdhsa_system_sgpr_workgroup_id_x 1
		.amdhsa_system_sgpr_workgroup_id_y 0
		.amdhsa_system_sgpr_workgroup_id_z 0
		.amdhsa_system_sgpr_workgroup_info 0
		.amdhsa_system_vgpr_workitem_id 0
		.amdhsa_next_free_vgpr 28
		.amdhsa_next_free_sgpr 48
		.amdhsa_reserve_vcc 1
		.amdhsa_float_round_mode_32 0
		.amdhsa_float_round_mode_16_64 0
		.amdhsa_float_denorm_mode_32 3
		.amdhsa_float_denorm_mode_16_64 3
		.amdhsa_dx10_clamp 1
		.amdhsa_ieee_mode 1
		.amdhsa_fp16_overflow 0
		.amdhsa_workgroup_processor_mode 1
		.amdhsa_memory_ordered 1
		.amdhsa_forward_progress 0
		.amdhsa_shared_vgpr_count 0
		.amdhsa_exception_fp_ieee_invalid_op 0
		.amdhsa_exception_fp_denorm_src 0
		.amdhsa_exception_fp_ieee_div_zero 0
		.amdhsa_exception_fp_ieee_overflow 0
		.amdhsa_exception_fp_ieee_underflow 0
		.amdhsa_exception_fp_ieee_inexact 0
		.amdhsa_exception_int_div_zero 0
	.end_amdhsa_kernel
	.section	.text._ZN5aiter22opus_moe_sorting_entryINS_16MoeSortingKernelINS_19MoeSortingProblemExIifLi4ELb0ELb1ELb1ELb1ELi0EEEEENS4_5KargsEEEvT0_,"axG",@progbits,_ZN5aiter22opus_moe_sorting_entryINS_16MoeSortingKernelINS_19MoeSortingProblemExIifLi4ELb0ELb1ELb1ELb1ELi0EEEEENS4_5KargsEEEvT0_,comdat
.Lfunc_end10:
	.size	_ZN5aiter22opus_moe_sorting_entryINS_16MoeSortingKernelINS_19MoeSortingProblemExIifLi4ELb0ELb1ELb1ELb1ELi0EEEEENS4_5KargsEEEvT0_, .Lfunc_end10-_ZN5aiter22opus_moe_sorting_entryINS_16MoeSortingKernelINS_19MoeSortingProblemExIifLi4ELb0ELb1ELb1ELb1ELi0EEEEENS4_5KargsEEEvT0_
                                        ; -- End function
	.section	.AMDGPU.csdata,"",@progbits
; Kernel info:
; codeLenInByte = 4236
; NumSgprs: 50
; NumVgprs: 28
; ScratchSize: 0
; MemoryBound: 0
; FloatMode: 240
; IeeeMode: 1
; LDSByteSize: 0 bytes/workgroup (compile time only)
; SGPRBlocks: 6
; VGPRBlocks: 3
; NumSGPRsForWavesPerEU: 50
; NumVGPRsForWavesPerEU: 28
; Occupancy: 16
; WaveLimiterHint : 1
; COMPUTE_PGM_RSRC2:SCRATCH_EN: 0
; COMPUTE_PGM_RSRC2:USER_SGPR: 15
; COMPUTE_PGM_RSRC2:TRAP_HANDLER: 0
; COMPUTE_PGM_RSRC2:TGID_X_EN: 1
; COMPUTE_PGM_RSRC2:TGID_Y_EN: 0
; COMPUTE_PGM_RSRC2:TGID_Z_EN: 0
; COMPUTE_PGM_RSRC2:TIDIG_COMP_CNT: 0
	.section	.text._ZN5aiter22opus_moe_sorting_entryINS_16MoeSortingKernelINS_19MoeSortingProblemExIifLi2ELb0ELb1ELb1ELb1ELi0EEEEENS4_5KargsEEEvT0_,"axG",@progbits,_ZN5aiter22opus_moe_sorting_entryINS_16MoeSortingKernelINS_19MoeSortingProblemExIifLi2ELb0ELb1ELb1ELb1ELi0EEEEENS4_5KargsEEEvT0_,comdat
	.protected	_ZN5aiter22opus_moe_sorting_entryINS_16MoeSortingKernelINS_19MoeSortingProblemExIifLi2ELb0ELb1ELb1ELb1ELi0EEEEENS4_5KargsEEEvT0_ ; -- Begin function _ZN5aiter22opus_moe_sorting_entryINS_16MoeSortingKernelINS_19MoeSortingProblemExIifLi2ELb0ELb1ELb1ELb1ELi0EEEEENS4_5KargsEEEvT0_
	.globl	_ZN5aiter22opus_moe_sorting_entryINS_16MoeSortingKernelINS_19MoeSortingProblemExIifLi2ELb0ELb1ELb1ELb1ELi0EEEEENS4_5KargsEEEvT0_
	.p2align	8
	.type	_ZN5aiter22opus_moe_sorting_entryINS_16MoeSortingKernelINS_19MoeSortingProblemExIifLi2ELb0ELb1ELb1ELb1ELi0EEEEENS4_5KargsEEEvT0_,@function
_ZN5aiter22opus_moe_sorting_entryINS_16MoeSortingKernelINS_19MoeSortingProblemExIifLi2ELb0ELb1ELb1ELb1ELi0EEEEENS4_5KargsEEEvT0_: ; @_ZN5aiter22opus_moe_sorting_entryINS_16MoeSortingKernelINS_19MoeSortingProblemExIifLi2ELb0ELb1ELb1ELb1ELi0EEEEENS4_5KargsEEEvT0_
; %bb.0:
	s_clause 0x2
	s_load_b512 s[16:31], s[0:1], 0x0
	s_load_b128 s[40:43], s[0:1], 0x40
	s_load_b128 s[36:39], s[0:1], 0x54
	s_cmp_eq_u32 s15, 0
	s_waitcnt lgkmcnt(0)
	s_load_b32 s22, s[22:23], 0x0
	s_cbranch_scc1 .LBB11_7
; %bb.1:
	s_cmp_eq_u64 s[40:41], 0
	s_cbranch_scc1 .LBB11_6
; %bb.2:
	s_waitcnt lgkmcnt(0)
	s_ashr_i32 s2, s22, 31
	s_mul_i32 s3, s38, s37
	s_mul_hi_i32 s5, s38, s37
	s_mul_i32 s2, s3, s2
	s_mul_hi_u32 s4, s3, s22
	s_mul_i32 s5, s5, s22
	s_add_i32 s2, s4, s2
	s_mul_i32 s3, s3, s22
	s_add_i32 s4, s2, s5
	v_mov_b32_e32 v2, 0
	s_ashr_i32 s2, s4, 31
	s_mov_b32 s7, 0
	s_lshr_b32 s2, s2, 28
	s_delay_alu instid0(SALU_CYCLE_1) | instskip(SKIP_2) | instid1(SALU_CYCLE_1)
	s_add_u32 s2, s3, s2
	s_addc_u32 s3, s4, 0
	s_lshl_b32 s4, s15, 8
	v_add3_u32 v1, v0, s4, 0xffffff00
	s_ashr_i64 s[4:5], s[2:3], 4
	s_mov_b32 s3, exec_lo
	s_delay_alu instid0(VALU_DEP_1)
	v_cmpx_gt_i64_e64 s[4:5], v[1:2]
	s_cbranch_execz .LBB11_5
; %bb.3:
	s_load_b32 s2, s[0:1], 0x90
	v_lshlrev_b64 v[3:4], 4, v[1:2]
	v_dual_mov_b32 v6, v2 :: v_dual_mov_b32 v5, v1
	v_mov_b32_e32 v1, v2
	s_delay_alu instid0(VALU_DEP_3) | instskip(NEXT) | instid1(VALU_DEP_4)
	v_add_co_u32 v7, vcc_lo, s40, v3
	v_add_co_ci_u32_e32 v8, vcc_lo, s41, v4, vcc_lo
	v_mov_b32_e32 v3, v2
	v_mov_b32_e32 v4, v2
	s_waitcnt lgkmcnt(0)
	s_lshl_b32 s2, s2, 8
	s_delay_alu instid0(SALU_CYCLE_1) | instskip(NEXT) | instid1(SALU_CYCLE_1)
	s_add_i32 s6, s2, 0xffffff00
	s_lshl_b64 s[8:9], s[6:7], 4
.LBB11_4:                               ; =>This Inner Loop Header: Depth=1
	v_add_co_u32 v5, vcc_lo, v5, s6
	v_add_co_ci_u32_e32 v6, vcc_lo, 0, v6, vcc_lo
	global_store_b128 v[7:8], v[1:4], off
	v_add_co_u32 v7, s2, v7, s8
	v_cmp_le_i64_e32 vcc_lo, s[4:5], v[5:6]
	v_add_co_ci_u32_e64 v8, s2, s9, v8, s2
	s_or_b32 s7, vcc_lo, s7
	s_delay_alu instid0(SALU_CYCLE_1)
	s_and_not1_b32 exec_lo, exec_lo, s7
	s_cbranch_execnz .LBB11_4
.LBB11_5:
	s_or_b32 exec_lo, exec_lo, s3
.LBB11_6:
	s_cbranch_execz .LBB11_8
	s_branch .LBB11_85
.LBB11_7:
.LBB11_8:
	s_clause 0x1
	s_load_b256 s[4:11], s[0:1], 0x64
	s_load_b64 s[12:13], s[0:1], 0x84
	v_lshrrev_b32_e32 v1, 5, v0
	v_lshlrev_b32_e32 v7, 2, v0
	s_add_i32 s34, s36, 1
	s_delay_alu instid0(VALU_DEP_2) | instskip(SKIP_2) | instid1(SALU_CYCLE_1)
	v_readfirstlane_b32 s40, v1
	s_waitcnt lgkmcnt(0)
	s_add_i32 s23, s4, -2
	s_mul_i32 s33, s23, s36
	s_delay_alu instid0(SALU_CYCLE_1) | instskip(NEXT) | instid1(VALU_DEP_1)
	v_cmp_gt_i32_e64 s0, s33, v0
	s_and_saveexec_b32 s35, s0
	s_cbranch_execz .LBB11_11
; %bb.9:
	s_lshl_b32 s1, s36, 3
	v_mad_u64_u32 v[1:2], null, v0, s12, 0
	s_add_i32 s1, s1, 0
	v_dual_mov_b32 v4, 0 :: v_dual_mov_b32 v5, v0
	v_add3_u32 v3, s1, v7, 8
	s_mov_b32 s3, 0
	s_sub_i32 s14, s34, s11
	s_mov_b32 s2, s12
	s_lshl_b32 s37, s14, 2
	s_lshl_b64 s[14:15], s[2:3], 8
	.p2align	6
.LBB11_10:                              ; =>This Inner Loop Header: Depth=1
	v_add_nc_u32_e32 v6, v5, v2
	v_add_nc_u32_e32 v5, 0x100, v5
	v_add_co_u32 v1, vcc_lo, v1, s14
	v_add_co_ci_u32_e32 v2, vcc_lo, s15, v2, vcc_lo
	s_delay_alu instid0(VALU_DEP_4) | instskip(NEXT) | instid1(VALU_DEP_4)
	v_lshrrev_b32_e32 v6, s13, v6
	v_cmp_le_i32_e64 s1, s33, v5
	s_delay_alu instid0(VALU_DEP_2) | instskip(SKIP_1) | instid1(VALU_DEP_3)
	v_mad_u64_u32 v[8:9], null, s37, v6, v[3:4]
	v_add_nc_u32_e32 v3, 0x400, v3
	s_or_b32 s3, s1, s3
	ds_store_b32 v8, v4
	s_and_not1_b32 exec_lo, exec_lo, s3
	s_cbranch_execnz .LBB11_10
.LBB11_11:
	s_or_b32 exec_lo, exec_lo, s35
	s_lshl_b32 s1, s34, 3
	s_mul_i32 s37, s8, s23
	s_add_i32 s35, s1, 0
	v_cmp_gt_i32_e32 vcc_lo, s37, v0
	s_cmp_gt_i32 s22, 0
	s_mov_b32 s3, 0
	s_cselect_b32 s39, -1, 0
	s_cmp_lt_i32 s22, 1
	s_waitcnt lgkmcnt(0)
	s_waitcnt_vscnt null, 0x0
	s_barrier
	buffer_gl0_inv
	s_cbranch_scc1 .LBB11_19
; %bb.12:
	v_mad_u64_u32 v[1:2], null, v0, s9, 0
	v_mov_b32_e32 v4, 0
	s_mov_b32 s2, s9
	s_mov_b32 s38, 0
	s_lshl_b64 s[14:15], s[2:3], 8
	s_branch .LBB11_14
.LBB11_13:                              ;   in Loop: Header=BB11_14 Depth=1
	s_set_inst_prefetch_distance 0x2
	s_or_b32 exec_lo, exec_lo, s41
	s_add_i32 s38, s38, s23
	s_add_i32 s3, s3, s37
	s_cmp_ge_i32 s38, s22
	s_waitcnt lgkmcnt(0)
	s_barrier
	buffer_gl0_inv
	s_cbranch_scc1 .LBB11_19
.LBB11_14:                              ; =>This Loop Header: Depth=1
                                        ;     Child Loop BB11_17 Depth 2
	s_and_saveexec_b32 s41, vcc_lo
	s_cbranch_execz .LBB11_13
; %bb.15:                               ;   in Loop: Header=BB11_14 Depth=1
	v_dual_mov_b32 v6, v2 :: v_dual_mov_b32 v5, v1
	v_mov_b32_e32 v8, v0
	s_mov_b32 s44, 0
	s_set_inst_prefetch_distance 0x1
	s_branch .LBB11_17
	.p2align	6
.LBB11_16:                              ;   in Loop: Header=BB11_17 Depth=2
	s_or_b32 exec_lo, exec_lo, s2
	v_add_nc_u32_e32 v8, 0x100, v8
	v_add_co_u32 v5, s2, v5, s14
	s_delay_alu instid0(VALU_DEP_1) | instskip(NEXT) | instid1(VALU_DEP_3)
	v_add_co_ci_u32_e64 v6, s2, s15, v6, s2
	v_cmp_le_i32_e64 s1, s37, v8
	s_waitcnt vmcnt(48) lgkmcnt(7)
	s_delay_alu instid0(VALU_DEP_1) | instskip(NEXT) | instid1(SALU_CYCLE_1)
	s_or_b32 s44, s1, s44
	s_and_not1_b32 exec_lo, exec_lo, s44
	s_cbranch_execz .LBB11_13
.LBB11_17:                              ;   Parent Loop BB11_14 Depth=1
                                        ; =>  This Inner Loop Header: Depth=2
	s_delay_alu instid0(VALU_DEP_1) | instskip(SKIP_1) | instid1(VALU_DEP_1)
	v_add_nc_u32_e32 v3, v8, v6
	s_mov_b32 s2, exec_lo
	v_lshrrev_b32_e32 v9, s10, v3
	s_delay_alu instid0(VALU_DEP_1) | instskip(NEXT) | instid1(VALU_DEP_1)
	v_add_nc_u32_e32 v3, s38, v9
	v_cmpx_gt_i32_e64 s22, v3
	s_cbranch_execz .LBB11_16
; %bb.18:                               ;   in Loop: Header=BB11_17 Depth=2
	v_add_nc_u32_e32 v3, s3, v8
	v_mul_lo_u32 v9, v9, s34
	s_delay_alu instid0(VALU_DEP_2) | instskip(NEXT) | instid1(VALU_DEP_2)
	v_lshlrev_b64 v[10:11], 2, v[3:4]
	v_lshlrev_b32_e32 v9, 2, v9
	s_delay_alu instid0(VALU_DEP_2) | instskip(NEXT) | instid1(VALU_DEP_1)
	v_add_co_u32 v10, s1, s16, v10
	v_add_co_ci_u32_e64 v11, s1, s17, v11, s1
	global_load_b32 v3, v[10:11], off
	s_waitcnt vmcnt(0)
	v_lshlrev_b32_e32 v3, 2, v3
	s_delay_alu instid0(VALU_DEP_1)
	v_add3_u32 v3, s35, v3, v9
	ds_load_b32 v9, v3
	s_waitcnt lgkmcnt(0)
	v_add_nc_u32_e32 v9, 1, v9
	ds_store_b32 v3, v9
	s_branch .LBB11_16
.LBB11_19:
	s_mov_b32 s1, exec_lo
	v_cmpx_eq_u32_e32 0, v0
	s_cbranch_execz .LBB11_21
; %bb.20:
	v_mov_b32_e32 v1, 0
	ds_store_b32 v1, v1
.LBB11_21:
	s_or_b32 exec_lo, exec_lo, s1
	v_and_b32_e32 v9, 7, v0
	v_lshrrev_b32_e32 v10, 3, v0
	v_mbcnt_lo_u32_b32 v12, -1, 0
	s_mov_b32 s14, 0
	s_delay_alu instid0(VALU_DEP_3) | instskip(NEXT) | instid1(VALU_DEP_3)
	v_mul_lo_u32 v1, s34, v9
	v_cmp_gt_i32_e64 s1, s36, v10
	v_lshlrev_b32_e32 v11, 2, v10
	s_delay_alu instid0(VALU_DEP_3) | instskip(NEXT) | instid1(VALU_DEP_3)
	v_lshlrev_b32_e32 v8, 2, v1
	s_and_saveexec_b32 s3, s1
	s_cbranch_execz .LBB11_29
; %bb.22:
	s_cmp_gt_i32 s4, 2
	s_mul_i32 s2, s36, 40
	s_cselect_b32 s4, -1, 0
	s_lshl_b32 s15, s36, 3
	v_dual_mov_b32 v6, v10 :: v_dual_lshlrev_b32 v3, 2, v12
	v_add3_u32 v4, v8, s2, v11
	v_add3_u32 v5, v8, s15, v11
	v_cmp_eq_u32_e64 s2, 0, v9
	s_delay_alu instid0(VALU_DEP_4)
	v_xor_b32_e32 v1, 4, v3
	v_xor_b32_e32 v2, 8, v3
	;; [unrolled: 1-line block ×3, first 2 shown]
	v_add3_u32 v4, v4, 0, 40
	v_add3_u32 v5, v5, 0, 8
	s_lshl_b32 s15, s36, 6
	s_delay_alu instid0(SALU_CYCLE_1)
	s_add_i32 s15, s15, 64
	s_branch .LBB11_24
.LBB11_23:                              ;   in Loop: Header=BB11_24 Depth=1
	s_or_b32 exec_lo, exec_lo, s38
	v_add_nc_u32_e32 v6, 32, v6
	v_add_nc_u32_e32 v4, 0x80, v4
	v_add_nc_u32_e32 v5, 0x80, v5
	s_delay_alu instid0(VALU_DEP_3) | instskip(SKIP_1) | instid1(SALU_CYCLE_1)
	v_cmp_le_i32_e32 vcc_lo, s36, v6
	s_or_b32 s14, vcc_lo, s14
	s_and_not1_b32 exec_lo, exec_lo, s14
	s_cbranch_execz .LBB11_29
.LBB11_24:                              ; =>This Loop Header: Depth=1
                                        ;     Child Loop BB11_26 Depth 2
	v_mov_b32_e32 v13, 0
	s_and_not1_b32 vcc_lo, exec_lo, s4
	s_cbranch_vccnz .LBB11_27
; %bb.25:                               ;   in Loop: Header=BB11_24 Depth=1
	v_mov_b32_e32 v13, 0
	s_mov_b32 s38, 0
	s_mov_b32 s41, 0
	.p2align	6
.LBB11_26:                              ;   Parent Loop BB11_24 Depth=1
                                        ; =>  This Inner Loop Header: Depth=2
	v_add_nc_u32_e32 v14, s38, v5
	v_add_nc_u32_e32 v15, s38, v4
	s_add_i32 s41, s41, 16
	s_add_i32 s38, s38, s15
	s_cmp_lt_i32 s41, s23
	ds_load_b32 v14, v14
	ds_load_b32 v15, v15
	s_waitcnt lgkmcnt(1)
	ds_bpermute_b32 v16, v1, v14
	s_waitcnt lgkmcnt(1)
	ds_bpermute_b32 v17, v1, v15
	s_waitcnt lgkmcnt(1)
	v_add_nc_u32_e32 v14, v16, v14
	s_waitcnt lgkmcnt(0)
	v_add_nc_u32_e32 v15, v17, v15
	ds_bpermute_b32 v16, v2, v14
	ds_bpermute_b32 v17, v2, v15
	s_waitcnt lgkmcnt(1)
	v_add_nc_u32_e32 v14, v16, v14
	s_waitcnt lgkmcnt(0)
	v_add_nc_u32_e32 v15, v17, v15
	ds_bpermute_b32 v16, v3, v14
	ds_bpermute_b32 v17, v3, v15
	s_waitcnt lgkmcnt(1)
	v_add3_u32 v13, v14, v13, v16
	s_waitcnt lgkmcnt(0)
	s_delay_alu instid0(VALU_DEP_1)
	v_add3_u32 v13, v13, v15, v17
	s_cbranch_scc1 .LBB11_26
.LBB11_27:                              ;   in Loop: Header=BB11_24 Depth=1
	s_and_saveexec_b32 s38, s2
	s_cbranch_execz .LBB11_23
; %bb.28:                               ;   in Loop: Header=BB11_24 Depth=1
	v_lshl_add_u32 v14, v6, 2, 0
	ds_store_b32 v14, v13 offset:4
	s_branch .LBB11_23
.LBB11_29:
	s_or_b32 exec_lo, exec_lo, s3
	s_lshl_b32 s14, s36, 2
	v_cmp_gt_i32_e64 s2, s36, v0
	s_add_i32 s15, s14, 0
	s_delay_alu instid0(SALU_CYCLE_1)
	v_dual_mov_b32 v1, 0 :: v_dual_mov_b32 v2, s15
	s_mov_b32 s4, 0
	ds_store_b32 v2, v1 offset:4
	s_and_saveexec_b32 s38, s2
	s_cbranch_execz .LBB11_32
; %bb.30:
	v_add_co_u32 v1, s3, s20, v7
	v_add3_u32 v3, s15, v7, 8
	v_add_co_ci_u32_e64 v2, null, s21, 0, s3
	v_mov_b32_e32 v4, v0
	.p2align	6
.LBB11_31:                              ; =>This Inner Loop Header: Depth=1
	global_load_b32 v5, v[1:2], off
	v_add_nc_u32_e32 v4, 0x100, v4
	v_add_co_u32 v1, vcc_lo, 0x400, v1
	v_add_co_ci_u32_e32 v2, vcc_lo, 0, v2, vcc_lo
	s_delay_alu instid0(VALU_DEP_3) | instskip(NEXT) | instid1(VALU_DEP_1)
	v_cmp_le_i32_e64 s3, s36, v4
	s_or_b32 s4, s3, s4
	s_waitcnt vmcnt(0)
	ds_store_b32 v3, v5
	v_add_nc_u32_e32 v3, 0x400, v3
	s_and_not1_b32 exec_lo, exec_lo, s4
	s_cbranch_execnz .LBB11_31
.LBB11_32:
	s_or_b32 exec_lo, exec_lo, s38
	s_add_i32 s38, s15, 4
	s_cmp_lg_u32 s40, 0
	s_mov_b32 s40, 0
	s_waitcnt lgkmcnt(0)
	s_barrier
	buffer_gl0_inv
	s_cbranch_scc1 .LBB11_43
; %bb.33:
	v_mov_b32_e32 v1, 0
	s_cmp_lt_i32 s36, 1
	s_cbranch_scc1 .LBB11_40
; %bb.34:
	v_lshlrev_b32_e32 v1, 2, v12
	v_cmp_eq_u32_e32 vcc_lo, 0, v12
	v_cmp_lt_u32_e64 s3, 15, v12
	s_add_i32 s41, s5, -1
	s_delay_alu instid0(VALU_DEP_3) | instskip(SKIP_1) | instid1(VALU_DEP_2)
	v_and_b32_e32 v2, 64, v1
	v_add_nc_u32_e32 v3, 0, v1
	v_add_nc_u32_e32 v2, -4, v2
	s_branch .LBB11_36
.LBB11_35:                              ;   in Loop: Header=BB11_36 Depth=1
	s_or_b32 exec_lo, exec_lo, s44
	v_add_nc_u32_e32 v3, 0x80, v3
	s_add_i32 s40, s40, 32
	s_waitcnt vmcnt(48) lgkmcnt(7)
	s_cmp_lt_i32 s40, s36
	s_cbranch_scc0 .LBB11_40
.LBB11_36:                              ; =>This Inner Loop Header: Depth=1
	ds_load_b32 v1, v3 offset:4
	v_add_nc_u32_e32 v4, s14, v3
	s_waitcnt lgkmcnt(1)
	v_cndmask_b32_e64 v6, 0, s40, vcc_lo
	ds_load_b32 v5, v4 offset:8
	v_lshlrev_b32_e32 v6, 2, v6
	s_delay_alu instid0(VALU_DEP_1) | instskip(SKIP_4) | instid1(VALU_DEP_1)
	v_add_nc_u32_e32 v14, 0, v6
	v_add_nc_u32_e32 v6, s38, v6
	ds_load_b32 v6, v6
	s_waitcnt lgkmcnt(2)
	v_add_nc_u32_e32 v1, s41, v1
	v_mul_hi_u32 v13, v1, s6
	s_waitcnt lgkmcnt(1)
	v_cmp_ne_u32_e64 s4, 0, v5
	s_delay_alu instid0(VALU_DEP_2) | instskip(SKIP_3) | instid1(VALU_DEP_1)
	v_add_nc_u32_e32 v1, v1, v13
	ds_load_b32 v13, v14
	v_add_nc_u32_e32 v14, s40, v12
	v_lshrrev_b32_e32 v1, s7, v1
	v_mul_lo_u32 v1, v1, s5
	s_delay_alu instid0(VALU_DEP_1) | instskip(NEXT) | instid1(VALU_DEP_4)
	v_cndmask_b32_e64 v1, 0, v1, s4
	v_cmp_gt_i32_e64 s4, s36, v14
	s_waitcnt lgkmcnt(0)
	s_delay_alu instid0(VALU_DEP_2) | instskip(NEXT) | instid1(VALU_DEP_1)
	v_add_nc_u32_e32 v1, v1, v13
	v_add_nc_u32_dpp v1, v1, v1 row_shr:1 row_mask:0xf bank_mask:0xf bound_ctrl:1
	s_delay_alu instid0(VALU_DEP_1) | instskip(NEXT) | instid1(VALU_DEP_1)
	v_add_nc_u32_dpp v1, v1, v1 row_shr:2 row_mask:0xf bank_mask:0xf bound_ctrl:1
	v_add_nc_u32_dpp v1, v1, v1 row_shr:4 row_mask:0xf bank_mask:0xf bound_ctrl:1
	s_delay_alu instid0(VALU_DEP_1) | instskip(SKIP_3) | instid1(VALU_DEP_1)
	v_add_nc_u32_dpp v1, v1, v1 row_shr:8 row_mask:0xf bank_mask:0xf bound_ctrl:1
	ds_bpermute_b32 v13, v2, v1
	s_waitcnt lgkmcnt(0)
	v_cndmask_b32_e64 v13, 0, v13, s3
	v_add_nc_u32_e32 v1, v1, v13
	s_and_saveexec_b32 s44, s4
	s_cbranch_execz .LBB11_38
; %bb.37:                               ;   in Loop: Header=BB11_36 Depth=1
	ds_store_b32 v3, v1 offset:4
.LBB11_38:                              ;   in Loop: Header=BB11_36 Depth=1
	s_or_b32 exec_lo, exec_lo, s44
	v_add_nc_u32_e32 v5, v5, v6
	s_delay_alu instid0(VALU_DEP_1) | instskip(NEXT) | instid1(VALU_DEP_1)
	v_add_nc_u32_dpp v5, v5, v5 row_shr:1 row_mask:0xf bank_mask:0xf bound_ctrl:1
	v_add_nc_u32_dpp v5, v5, v5 row_shr:2 row_mask:0xf bank_mask:0xf bound_ctrl:1
	s_delay_alu instid0(VALU_DEP_1) | instskip(NEXT) | instid1(VALU_DEP_1)
	v_add_nc_u32_dpp v5, v5, v5 row_shr:4 row_mask:0xf bank_mask:0xf bound_ctrl:1
	v_add_nc_u32_dpp v5, v5, v5 row_shr:8 row_mask:0xf bank_mask:0xf bound_ctrl:1
	ds_bpermute_b32 v6, v2, v5
	s_and_saveexec_b32 s44, s4
	s_cbranch_execz .LBB11_35
; %bb.39:                               ;   in Loop: Header=BB11_36 Depth=1
	s_waitcnt lgkmcnt(0)
	v_cndmask_b32_e64 v6, 0, v6, s3
	s_delay_alu instid0(VALU_DEP_1)
	v_add_nc_u32_e32 v5, v6, v5
	ds_store_b32 v4, v5 offset:8
	s_branch .LBB11_35
.LBB11_40:
	v_add3_u32 v2, v12, s40, 0xffffffe1
	s_mov_b32 s3, exec_lo
	s_delay_alu instid0(VALU_DEP_1)
	v_cmpx_eq_u32_e64 s36, v2
	s_cbranch_execz .LBB11_42
; %bb.41:
	v_dual_mov_b32 v3, 0 :: v_dual_mov_b32 v2, s22
	global_store_b64 v3, v[1:2], s[30:31]
.LBB11_42:
	s_or_b32 exec_lo, exec_lo, s3
.LBB11_43:
	s_cmp_eq_u64 s[42:43], 0
	s_waitcnt lgkmcnt(0)
	s_waitcnt_vscnt null, 0x0
	s_barrier
	buffer_gl0_inv
	s_cbranch_scc1 .LBB11_50
; %bb.44:
	s_mul_i32 s4, s22, s8
	s_mov_b32 s30, exec_lo
	v_cmpx_gt_i32_e64 s4, v0
	s_cbranch_execz .LBB11_49
; %bb.45:
	v_add_co_u32 v1, s3, s16, v7
	s_delay_alu instid0(VALU_DEP_1) | instskip(SKIP_1) | instid1(VALU_DEP_1)
	v_add_co_ci_u32_e64 v2, null, s17, 0, s3
	v_add_co_u32 v3, s3, s42, v7
	v_add_co_ci_u32_e64 v4, null, s43, 0, s3
	v_mov_b32_e32 v13, v0
	s_mov_b32 s31, 0
	s_set_inst_prefetch_distance 0x1
	s_branch .LBB11_47
	.p2align	6
.LBB11_46:                              ;   in Loop: Header=BB11_47 Depth=1
	s_or_b32 exec_lo, exec_lo, s3
	v_add_nc_u32_e32 v13, 0x100, v13
	v_add_co_u32 v1, vcc_lo, 0x400, v1
	v_add_co_ci_u32_e32 v2, vcc_lo, 0, v2, vcc_lo
	s_waitcnt lgkmcnt(0)
	global_store_b32 v[3:4], v6, off
	v_cmp_le_i32_e32 vcc_lo, s4, v13
	v_add_co_u32 v3, s3, 0x400, v3
	s_delay_alu instid0(VALU_DEP_1) | instskip(SKIP_1) | instid1(SALU_CYCLE_1)
	v_add_co_ci_u32_e64 v4, s3, 0, v4, s3
	s_or_b32 s31, vcc_lo, s31
	s_and_not1_b32 exec_lo, exec_lo, s31
	s_cbranch_execz .LBB11_49
.LBB11_47:                              ; =>This Inner Loop Header: Depth=1
	global_load_b32 v5, v[1:2], off
	s_waitcnt vmcnt(0)
	v_ashrrev_i32_e32 v6, 31, v5
	s_delay_alu instid0(VALU_DEP_1) | instskip(NEXT) | instid1(VALU_DEP_1)
	v_lshlrev_b64 v[14:15], 2, v[5:6]
	v_add_co_u32 v14, vcc_lo, s20, v14
	s_delay_alu instid0(VALU_DEP_2)
	v_add_co_ci_u32_e32 v15, vcc_lo, s21, v15, vcc_lo
	global_load_b32 v6, v[14:15], off
	s_waitcnt vmcnt(0)
	v_cmp_ne_u32_e32 vcc_lo, 0, v6
	v_mov_b32_e32 v6, -1
	s_and_saveexec_b32 s3, vcc_lo
	s_cbranch_execz .LBB11_46
; %bb.48:                               ;   in Loop: Header=BB11_47 Depth=1
	v_lshl_add_u32 v5, v5, 2, s38
	ds_load_b32 v6, v5
	s_branch .LBB11_46
.LBB11_49:
	s_set_inst_prefetch_distance 0x2
	s_or_b32 exec_lo, exec_lo, s30
	s_waitcnt_vscnt null, 0x0
	s_barrier
	buffer_gl0_inv
.LBB11_50:
	s_and_saveexec_b32 s4, s2
	s_cbranch_execz .LBB11_57
; %bb.51:
	v_dual_mov_b32 v2, 0 :: v_dual_mov_b32 v3, v0
	s_mov_b32 s30, 0
	s_branch .LBB11_53
.LBB11_52:                              ;   in Loop: Header=BB11_53 Depth=1
	s_or_b32 exec_lo, exec_lo, s31
	v_add_nc_u32_e32 v3, 0x100, v3
	s_delay_alu instid0(VALU_DEP_1) | instskip(SKIP_1) | instid1(SALU_CYCLE_1)
	v_cmp_le_i32_e32 vcc_lo, s36, v3
	s_or_b32 s30, vcc_lo, s30
	s_and_not1_b32 exec_lo, exec_lo, s30
	s_cbranch_execz .LBB11_57
.LBB11_53:                              ; =>This Loop Header: Depth=1
                                        ;     Child Loop BB11_56 Depth 2
	s_delay_alu instid0(VALU_DEP_1) | instskip(SKIP_1) | instid1(VALU_DEP_1)
	v_lshlrev_b32_e32 v1, 2, v3
	s_mov_b32 s31, exec_lo
	v_add_nc_u32_e32 v4, 0, v1
	v_add_nc_u32_e32 v1, s38, v1
	ds_load_2addr_b32 v[5:6], v4 offset1:1
	s_waitcnt lgkmcnt(2)
	ds_load_b32 v13, v1
	s_waitcnt lgkmcnt(1)
	ds_store_b32 v1, v5
	v_cmpx_ne_u32_e64 v5, v6
	s_cbranch_execz .LBB11_52
; %bb.54:                               ;   in Loop: Header=BB11_53 Depth=1
	v_mov_b32_e32 v4, v2
	v_cmp_lt_i32_e64 s3, v5, v6
	s_delay_alu instid0(VALU_DEP_2) | instskip(NEXT) | instid1(VALU_DEP_1)
	v_lshlrev_b64 v[14:15], 2, v[3:4]
	v_add_co_u32 v14, vcc_lo, s20, v14
	s_delay_alu instid0(VALU_DEP_2) | instskip(SKIP_4) | instid1(SALU_CYCLE_1)
	v_add_co_ci_u32_e32 v15, vcc_lo, s21, v15, vcc_lo
	global_load_b32 v1, v[14:15], off
	s_waitcnt vmcnt(0)
	v_cmp_ne_u32_e32 vcc_lo, 0, v1
	s_and_b32 s3, s3, vcc_lo
	s_and_b32 exec_lo, exec_lo, s3
	s_cbranch_execz .LBB11_52
; %bb.55:                               ;   in Loop: Header=BB11_53 Depth=1
	s_mov_b32 s40, 0
	.p2align	6
.LBB11_56:                              ;   Parent Loop BB11_53 Depth=1
                                        ; =>  This Inner Loop Header: Depth=2
	v_mul_hi_u32 v1, s6, v5
	s_delay_alu instid0(VALU_DEP_1) | instskip(SKIP_1) | instid1(VALU_DEP_2)
	v_add_nc_u32_e32 v1, v5, v1
	v_add_nc_u32_e32 v5, s5, v5
	v_lshrrev_b32_e32 v1, s7, v1
	s_delay_alu instid0(VALU_DEP_2) | instskip(NEXT) | instid1(VALU_DEP_2)
	v_cmp_ge_i32_e32 vcc_lo, v5, v6
	v_lshlrev_b64 v[14:15], 2, v[1:2]
	s_or_b32 s40, vcc_lo, s40
	s_delay_alu instid0(VALU_DEP_1) | instskip(NEXT) | instid1(VALU_DEP_1)
	v_add_co_u32 v14, s3, s28, v14
	v_add_co_ci_u32_e64 v15, s3, s29, v15, s3
	s_waitcnt lgkmcnt(1)
	global_store_b32 v[14:15], v13, off
	s_and_not1_b32 exec_lo, exec_lo, s40
	s_cbranch_execnz .LBB11_56
	s_branch .LBB11_52
.LBB11_57:
	s_or_b32 exec_lo, exec_lo, s4
	s_add_i32 s3, s15, s14
	s_delay_alu instid0(SALU_CYCLE_1)
	v_dual_mov_b32 v1, s15 :: v_dual_mov_b32 v2, s3
	s_waitcnt lgkmcnt(0)
	s_waitcnt_vscnt null, 0x0
	s_barrier
	buffer_gl0_inv
	ds_load_b32 v1, v1
	s_and_not1_b32 vcc_lo, exec_lo, s39
	s_waitcnt lgkmcnt(0)
	ds_store_b32 v2, v1 offset:4
	s_cbranch_vccnz .LBB11_79
; %bb.58:
	s_sub_i32 s5, s34, s11
	s_add_u32 s11, s24, -4
	s_addc_u32 s28, s25, -1
	s_add_u32 s29, s18, -4
	s_addc_u32 s30, s19, -1
	v_dual_mov_b32 v6, 0 :: v_dual_and_b32 v1, 8, v12
	s_add_u32 s31, s26, -4
	s_addc_u32 s39, s27, -1
	s_lshl_b32 s18, s36, 3
	s_delay_alu instid0(VALU_DEP_1)
	v_cmp_eq_u32_e64 s4, 0, v1
	v_add3_u32 v5, v8, s18, v11
	v_mad_u64_u32 v[1:2], null, v0, s12, 0
	v_mad_u64_u32 v[3:4], null, v0, s9, 0
	v_mul_lo_u32 v11, s8, v9
	s_add_i32 s14, s18, 0
	s_mov_b32 s7, 0
	v_cmp_gt_i32_e32 vcc_lo, s37, v0
	v_cmp_gt_i32_e64 s3, s23, v9
	v_or_b32_e32 v12, 28, v7
	v_add3_u32 v13, s14, v7, 8
	v_add3_u32 v14, v5, 0, 8
	s_mov_b32 s6, s12
	s_mov_b32 s42, s9
	;; [unrolled: 1-line block ×3, first 2 shown]
	s_lshl_b32 s41, s36, 5
	s_lshl_b32 s40, s5, 2
	s_lshl_b64 s[14:15], s[6:7], 8
	s_sub_i32 s12, 0, s8
	s_lshl_b64 s[18:19], s[42:43], 8
	s_lshl_b32 s9, s8, 3
	s_add_i32 s41, s41, 32
	s_mov_b32 s42, s7
	s_branch .LBB11_60
.LBB11_59:                              ;   in Loop: Header=BB11_60 Depth=1
	s_or_b32 exec_lo, exec_lo, s43
	v_add_nc_u32_e32 v11, s37, v11
	s_add_i32 s42, s42, s23
	s_add_i32 s7, s7, s37
	s_cmp_ge_i32 s42, s22
	s_waitcnt lgkmcnt(0)
	s_waitcnt_vscnt null, 0x0
	s_barrier
	buffer_gl0_inv
	s_cbranch_scc1 .LBB11_79
.LBB11_60:                              ; =>This Loop Header: Depth=1
                                        ;     Child Loop BB11_62 Depth 2
                                        ;     Child Loop BB11_66 Depth 2
	;; [unrolled: 1-line block ×3, first 2 shown]
                                        ;       Child Loop BB11_77 Depth 3
	s_and_saveexec_b32 s43, s0
	s_cbranch_execz .LBB11_63
; %bb.61:                               ;   in Loop: Header=BB11_60 Depth=1
	v_dual_mov_b32 v8, v2 :: v_dual_mov_b32 v7, v1
	v_mov_b32_e32 v5, v13
	v_mov_b32_e32 v15, v0
	s_mov_b32 s44, 0
	.p2align	6
.LBB11_62:                              ;   Parent Loop BB11_60 Depth=1
                                        ; =>  This Inner Loop Header: Depth=2
	s_delay_alu instid0(VALU_DEP_1) | instskip(SKIP_2) | instid1(VALU_DEP_1)
	v_add_nc_u32_e32 v16, v15, v8
	v_add_nc_u32_e32 v15, 0x100, v15
	v_add_co_u32 v7, s5, v7, s14
	v_add_co_ci_u32_e64 v8, s5, s15, v8, s5
	s_delay_alu instid0(VALU_DEP_4) | instskip(NEXT) | instid1(VALU_DEP_4)
	v_lshrrev_b32_e32 v18, s13, v16
	v_cmp_le_i32_e64 s6, s33, v15
	s_delay_alu instid0(VALU_DEP_2) | instskip(SKIP_1) | instid1(VALU_DEP_3)
	v_mad_u64_u32 v[16:17], null, s40, v18, v[5:6]
	v_add_nc_u32_e32 v5, 0x400, v5
	s_or_b32 s44, s6, s44
	ds_store_b32 v16, v6
	s_and_not1_b32 exec_lo, exec_lo, s44
	s_cbranch_execnz .LBB11_62
.LBB11_63:                              ;   in Loop: Header=BB11_60 Depth=1
	s_or_b32 exec_lo, exec_lo, s43
	s_waitcnt lgkmcnt(0)
	s_barrier
	buffer_gl0_inv
	s_and_saveexec_b32 s43, vcc_lo
	s_cbranch_execz .LBB11_68
; %bb.64:                               ;   in Loop: Header=BB11_60 Depth=1
	v_dual_mov_b32 v8, v4 :: v_dual_mov_b32 v7, v3
	v_mov_b32_e32 v5, v0
	s_mov_b32 s44, 0
	s_set_inst_prefetch_distance 0x1
	s_branch .LBB11_66
	.p2align	6
.LBB11_65:                              ;   in Loop: Header=BB11_66 Depth=2
	s_or_b32 exec_lo, exec_lo, s6
	v_add_nc_u32_e32 v5, 0x100, v5
	v_add_co_u32 v7, s6, v7, s18
	s_delay_alu instid0(VALU_DEP_1) | instskip(NEXT) | instid1(VALU_DEP_3)
	v_add_co_ci_u32_e64 v8, s6, s19, v8, s6
	v_cmp_le_i32_e64 s5, s37, v5
	s_delay_alu instid0(VALU_DEP_1) | instskip(NEXT) | instid1(SALU_CYCLE_1)
	s_or_b32 s44, s5, s44
	s_and_not1_b32 exec_lo, exec_lo, s44
	s_cbranch_execz .LBB11_68
.LBB11_66:                              ;   Parent Loop BB11_60 Depth=1
                                        ; =>  This Inner Loop Header: Depth=2
	s_delay_alu instid0(VALU_DEP_1) | instskip(SKIP_1) | instid1(VALU_DEP_1)
	v_add_nc_u32_e32 v15, v5, v8
	s_mov_b32 s6, exec_lo
	v_lshrrev_b32_e32 v15, s10, v15
	s_delay_alu instid0(VALU_DEP_1) | instskip(NEXT) | instid1(VALU_DEP_1)
	v_add_nc_u32_e32 v16, s42, v15
	v_cmpx_gt_i32_e64 s22, v16
	s_cbranch_execz .LBB11_65
; %bb.67:                               ;   in Loop: Header=BB11_66 Depth=2
	v_add_nc_u32_e32 v16, s7, v5
	s_delay_alu instid0(VALU_DEP_1) | instskip(NEXT) | instid1(VALU_DEP_1)
	v_ashrrev_i32_e32 v17, 31, v16
	v_lshlrev_b64 v[16:17], 2, v[16:17]
	s_delay_alu instid0(VALU_DEP_1) | instskip(NEXT) | instid1(VALU_DEP_1)
	v_add_co_u32 v16, s5, s16, v16
	v_add_co_ci_u32_e64 v17, s5, s17, v17, s5
	global_load_b32 v16, v[16:17], off
	v_mul_lo_u32 v17, v15, s34
	v_mul_lo_u32 v15, s12, v15
	s_delay_alu instid0(VALU_DEP_2) | instskip(NEXT) | instid1(VALU_DEP_2)
	v_lshlrev_b32_e32 v17, 2, v17
	v_add3_u32 v15, v5, v15, 1
	s_waitcnt vmcnt(0)
	v_lshlrev_b32_e32 v16, 2, v16
	s_delay_alu instid0(VALU_DEP_1)
	v_add3_u32 v16, s35, v16, v17
	ds_store_b32 v16, v15
	s_branch .LBB11_65
.LBB11_68:                              ;   in Loop: Header=BB11_60 Depth=1
	s_set_inst_prefetch_distance 0x2
	s_or_b32 exec_lo, exec_lo, s43
	s_waitcnt lgkmcnt(0)
	s_barrier
	buffer_gl0_inv
	s_and_saveexec_b32 s43, s1
	s_cbranch_execz .LBB11_59
; %bb.69:                               ;   in Loop: Header=BB11_60 Depth=1
	v_mov_b32_e32 v7, v14
	v_mov_b32_e32 v5, v10
	s_mov_b32 s44, 0
	s_branch .LBB11_73
.LBB11_70:                              ;   in Loop: Header=BB11_73 Depth=2
	s_or_b32 exec_lo, exec_lo, s47
.LBB11_71:                              ;   in Loop: Header=BB11_73 Depth=2
	s_delay_alu instid0(SALU_CYCLE_1)
	s_or_b32 exec_lo, exec_lo, s46
	s_waitcnt lgkmcnt(0)
	ds_store_b32 v8, v15
.LBB11_72:                              ;   in Loop: Header=BB11_73 Depth=2
	s_or_b32 exec_lo, exec_lo, s45
	v_add_nc_u32_e32 v5, 32, v5
	v_add_nc_u32_e32 v7, 0x80, v7
	s_delay_alu instid0(VALU_DEP_2) | instskip(NEXT) | instid1(VALU_DEP_1)
	v_cmp_le_i32_e64 s5, s36, v5
	s_or_b32 s44, s5, s44
	s_delay_alu instid0(SALU_CYCLE_1)
	s_and_not1_b32 exec_lo, exec_lo, s44
	s_cbranch_execz .LBB11_59
.LBB11_73:                              ;   Parent Loop BB11_60 Depth=1
                                        ; =>  This Loop Header: Depth=2
                                        ;       Child Loop BB11_77 Depth 3
	s_delay_alu instid0(VALU_DEP_1) | instskip(SKIP_1) | instid1(VALU_DEP_1)
	v_lshlrev_b64 v[15:16], 2, v[5:6]
	s_mov_b32 s45, exec_lo
	v_add_co_u32 v15, s5, s20, v15
	s_delay_alu instid0(VALU_DEP_1)
	v_add_co_ci_u32_e64 v16, s5, s21, v16, s5
	global_load_b32 v8, v[15:16], off
	s_waitcnt vmcnt(0)
	v_cmpx_ne_u32_e32 0, v8
	s_cbranch_execz .LBB11_72
; %bb.74:                               ;   in Loop: Header=BB11_73 Depth=2
	v_lshl_add_u32 v8, v5, 2, 0
	ds_load_b32 v15, v8
	s_and_saveexec_b32 s46, s3
	s_cbranch_execz .LBB11_71
; %bb.75:                               ;   in Loop: Header=BB11_73 Depth=2
	v_mov_b32_e32 v16, v7
	v_dual_mov_b32 v17, v11 :: v_dual_mov_b32 v18, v9
	s_mov_b32 s47, 0
	s_branch .LBB11_77
.LBB11_76:                              ;   in Loop: Header=BB11_77 Depth=3
	s_or_b32 exec_lo, exec_lo, s6
	ds_bpermute_b32 v19, v12, v19
	v_add_nc_u32_e32 v18, 8, v18
	v_add_nc_u32_e32 v17, s9, v17
	;; [unrolled: 1-line block ×3, first 2 shown]
	s_delay_alu instid0(VALU_DEP_3) | instskip(NEXT) | instid1(VALU_DEP_1)
	v_cmp_le_i32_e64 s5, s23, v18
	s_or_b32 s47, s5, s47
	s_waitcnt lgkmcnt(0)
	v_add_nc_u32_e32 v15, v19, v15
	s_and_not1_b32 exec_lo, exec_lo, s47
	s_cbranch_execz .LBB11_70
.LBB11_77:                              ;   Parent Loop BB11_60 Depth=1
                                        ;     Parent Loop BB11_73 Depth=2
                                        ; =>    This Inner Loop Header: Depth=3
	ds_load_b32 v20, v16
	s_waitcnt lgkmcnt(0)
	v_cmp_ne_u32_e64 s5, 0, v20
	s_delay_alu instid0(VALU_DEP_1) | instskip(NEXT) | instid1(VALU_DEP_1)
	v_cndmask_b32_e64 v19, 0, 1, s5
	v_mov_b32_dpp v19, v19 row_shr:1 row_mask:0xf bank_mask:0xf bound_ctrl:1
	s_delay_alu instid0(VALU_DEP_1) | instskip(NEXT) | instid1(VALU_DEP_1)
	v_add_co_ci_u32_e64 v21, s6, 0, v19, s5
	v_mov_b32_dpp v21, v21 row_shr:2 row_mask:0xf bank_mask:0xf bound_ctrl:1
	s_delay_alu instid0(VALU_DEP_1) | instskip(NEXT) | instid1(VALU_DEP_1)
	v_add_co_ci_u32_e64 v19, s6, v21, v19, s5
	v_add_nc_u32_dpp v19, v19, v19 row_shr:4 row_mask:0xf bank_mask:0xf bound_ctrl:1
	s_delay_alu instid0(VALU_DEP_1) | instskip(NEXT) | instid1(VALU_DEP_1)
	v_add_nc_u32_dpp v19, v19, v19 row_shr:8 row_mask:0xf bank_mask:0xf bound_ctrl:1
	v_mov_b32_dpp v21, v19 row_share:7 row_mask:0xf bank_mask:0xf bound_ctrl:1
	s_delay_alu instid0(VALU_DEP_1) | instskip(NEXT) | instid1(VALU_DEP_1)
	v_cndmask_b32_e64 v21, v21, 0, s4
	v_sub_nc_u32_e32 v19, v19, v21
	s_and_saveexec_b32 s6, s5
	s_cbranch_execz .LBB11_76
; %bb.78:                               ;   in Loop: Header=BB11_77 Depth=3
	v_add_nc_u32_e32 v21, v17, v20
	v_add_nc_u32_e32 v23, s42, v18
	s_delay_alu instid0(VALU_DEP_2) | instskip(NEXT) | instid1(VALU_DEP_2)
	v_ashrrev_i32_e32 v22, 31, v21
	v_perm_b32 v23, v20, v23, 0x4020100
	s_delay_alu instid0(VALU_DEP_2) | instskip(NEXT) | instid1(VALU_DEP_2)
	v_lshlrev_b64 v[21:22], 2, v[21:22]
	v_add_nc_u32_e32 v25, 0xff000000, v23
	s_delay_alu instid0(VALU_DEP_2) | instskip(NEXT) | instid1(VALU_DEP_1)
	v_add_co_u32 v21, s5, s29, v21
	v_add_co_ci_u32_e64 v22, s5, s30, v22, s5
	global_load_b32 v24, v[21:22], off
	v_add_nc_u32_e32 v21, v19, v15
	s_delay_alu instid0(VALU_DEP_1) | instskip(NEXT) | instid1(VALU_DEP_1)
	v_ashrrev_i32_e32 v22, 31, v21
	v_lshlrev_b64 v[20:21], 2, v[21:22]
	s_delay_alu instid0(VALU_DEP_1) | instskip(NEXT) | instid1(VALU_DEP_1)
	v_add_co_u32 v22, s5, s11, v20
	v_add_co_ci_u32_e64 v23, s5, s28, v21, s5
	v_add_co_u32 v20, s5, s31, v20
	s_delay_alu instid0(VALU_DEP_1)
	v_add_co_ci_u32_e64 v21, s5, s39, v21, s5
	global_store_b32 v[22:23], v25, off
	s_waitcnt vmcnt(0)
	global_store_b32 v[20:21], v24, off
	s_branch .LBB11_76
.LBB11_79:
	s_and_saveexec_b32 s0, s2
	s_cbranch_execz .LBB11_85
; %bb.80:
	v_mov_b32_e32 v6, 0
	s_and_b32 s0, s22, 0xffffff
	s_lshl_b32 s1, s8, 24
	s_add_i32 s38, s38, 4
	s_or_b32 s1, s0, s1
	s_mov_b32 s2, 0
	s_set_inst_prefetch_distance 0x1
	s_branch .LBB11_82
	.p2align	6
.LBB11_81:                              ;   in Loop: Header=BB11_82 Depth=1
	s_or_b32 exec_lo, exec_lo, s3
	v_add_nc_u32_e32 v0, 0x100, v0
	s_delay_alu instid0(VALU_DEP_1) | instskip(SKIP_1) | instid1(SALU_CYCLE_1)
	v_cmp_le_i32_e32 vcc_lo, s36, v0
	s_or_b32 s2, vcc_lo, s2
	s_and_not1_b32 exec_lo, exec_lo, s2
	s_cbranch_execz .LBB11_85
.LBB11_82:                              ; =>This Loop Header: Depth=1
                                        ;     Child Loop BB11_84 Depth 2
	v_lshlrev_b32_e32 v1, 2, v0
	s_mov_b32 s3, exec_lo
	s_delay_alu instid0(VALU_DEP_1)
	v_add_nc_u32_e32 v2, 0, v1
	v_add_nc_u32_e32 v3, s38, v1
	ds_load_b32 v1, v2
	ds_load_b32 v7, v3
	s_waitcnt lgkmcnt(0)
	v_cmpx_lt_i32_e64 v1, v7
	s_cbranch_execz .LBB11_81
; %bb.83:                               ;   in Loop: Header=BB11_82 Depth=1
	v_ashrrev_i32_e32 v2, 31, v1
	s_mov_b32 s4, 0
	s_delay_alu instid0(VALU_DEP_1) | instskip(NEXT) | instid1(VALU_DEP_1)
	v_lshlrev_b64 v[4:5], 2, v[1:2]
	v_add_co_u32 v2, vcc_lo, s24, v4
	s_delay_alu instid0(VALU_DEP_2)
	v_add_co_ci_u32_e32 v3, vcc_lo, s25, v5, vcc_lo
	v_add_co_u32 v4, vcc_lo, s26, v4
	v_add_co_ci_u32_e32 v5, vcc_lo, s27, v5, vcc_lo
	.p2align	6
.LBB11_84:                              ;   Parent Loop BB11_82 Depth=1
                                        ; =>  This Inner Loop Header: Depth=2
	v_dual_mov_b32 v8, s1 :: v_dual_add_nc_u32 v1, 1, v1
	global_store_b32 v[4:5], v6, off
	v_add_co_u32 v4, vcc_lo, v4, 4
	v_add_co_ci_u32_e32 v5, vcc_lo, 0, v5, vcc_lo
	global_store_b32 v[2:3], v8, off
	v_cmp_ge_i32_e32 vcc_lo, v1, v7
	v_add_co_u32 v2, s0, v2, 4
	s_delay_alu instid0(VALU_DEP_1) | instskip(SKIP_1) | instid1(SALU_CYCLE_1)
	v_add_co_ci_u32_e64 v3, s0, 0, v3, s0
	s_or_b32 s4, vcc_lo, s4
	s_and_not1_b32 exec_lo, exec_lo, s4
	s_cbranch_execnz .LBB11_84
	s_branch .LBB11_81
.LBB11_85:
	s_set_inst_prefetch_distance 0x2
	s_nop 0
	s_sendmsg sendmsg(MSG_DEALLOC_VGPRS)
	s_endpgm
	.section	.rodata,"a",@progbits
	.p2align	6, 0x0
	.amdhsa_kernel _ZN5aiter22opus_moe_sorting_entryINS_16MoeSortingKernelINS_19MoeSortingProblemExIifLi2ELb0ELb1ELb1ELb1ELi0EEEEENS4_5KargsEEEvT0_
		.amdhsa_group_segment_fixed_size 0
		.amdhsa_private_segment_fixed_size 0
		.amdhsa_kernarg_size 400
		.amdhsa_user_sgpr_count 15
		.amdhsa_user_sgpr_dispatch_ptr 0
		.amdhsa_user_sgpr_queue_ptr 0
		.amdhsa_user_sgpr_kernarg_segment_ptr 1
		.amdhsa_user_sgpr_dispatch_id 0
		.amdhsa_user_sgpr_private_segment_size 0
		.amdhsa_wavefront_size32 1
		.amdhsa_uses_dynamic_stack 0
		.amdhsa_enable_private_segment 0
		.amdhsa_system_sgpr_workgroup_id_x 1
		.amdhsa_system_sgpr_workgroup_id_y 0
		.amdhsa_system_sgpr_workgroup_id_z 0
		.amdhsa_system_sgpr_workgroup_info 0
		.amdhsa_system_vgpr_workitem_id 0
		.amdhsa_next_free_vgpr 26
		.amdhsa_next_free_sgpr 48
		.amdhsa_reserve_vcc 1
		.amdhsa_float_round_mode_32 0
		.amdhsa_float_round_mode_16_64 0
		.amdhsa_float_denorm_mode_32 3
		.amdhsa_float_denorm_mode_16_64 3
		.amdhsa_dx10_clamp 1
		.amdhsa_ieee_mode 1
		.amdhsa_fp16_overflow 0
		.amdhsa_workgroup_processor_mode 1
		.amdhsa_memory_ordered 1
		.amdhsa_forward_progress 0
		.amdhsa_shared_vgpr_count 0
		.amdhsa_exception_fp_ieee_invalid_op 0
		.amdhsa_exception_fp_denorm_src 0
		.amdhsa_exception_fp_ieee_div_zero 0
		.amdhsa_exception_fp_ieee_overflow 0
		.amdhsa_exception_fp_ieee_underflow 0
		.amdhsa_exception_fp_ieee_inexact 0
		.amdhsa_exception_int_div_zero 0
	.end_amdhsa_kernel
	.section	.text._ZN5aiter22opus_moe_sorting_entryINS_16MoeSortingKernelINS_19MoeSortingProblemExIifLi2ELb0ELb1ELb1ELb1ELi0EEEEENS4_5KargsEEEvT0_,"axG",@progbits,_ZN5aiter22opus_moe_sorting_entryINS_16MoeSortingKernelINS_19MoeSortingProblemExIifLi2ELb0ELb1ELb1ELb1ELi0EEEEENS4_5KargsEEEvT0_,comdat
.Lfunc_end11:
	.size	_ZN5aiter22opus_moe_sorting_entryINS_16MoeSortingKernelINS_19MoeSortingProblemExIifLi2ELb0ELb1ELb1ELb1ELi0EEEEENS4_5KargsEEEvT0_, .Lfunc_end11-_ZN5aiter22opus_moe_sorting_entryINS_16MoeSortingKernelINS_19MoeSortingProblemExIifLi2ELb0ELb1ELb1ELb1ELi0EEEEENS4_5KargsEEEvT0_
                                        ; -- End function
	.section	.AMDGPU.csdata,"",@progbits
; Kernel info:
; codeLenInByte = 4012
; NumSgprs: 50
; NumVgprs: 26
; ScratchSize: 0
; MemoryBound: 0
; FloatMode: 240
; IeeeMode: 1
; LDSByteSize: 0 bytes/workgroup (compile time only)
; SGPRBlocks: 6
; VGPRBlocks: 3
; NumSGPRsForWavesPerEU: 50
; NumVGPRsForWavesPerEU: 26
; Occupancy: 16
; WaveLimiterHint : 1
; COMPUTE_PGM_RSRC2:SCRATCH_EN: 0
; COMPUTE_PGM_RSRC2:USER_SGPR: 15
; COMPUTE_PGM_RSRC2:TRAP_HANDLER: 0
; COMPUTE_PGM_RSRC2:TGID_X_EN: 1
; COMPUTE_PGM_RSRC2:TGID_Y_EN: 0
; COMPUTE_PGM_RSRC2:TGID_Z_EN: 0
; COMPUTE_PGM_RSRC2:TIDIG_COMP_CNT: 0
	.section	.text._ZN5aiter22opus_moe_sorting_entryINS_16MoeSortingKernelINS_19MoeSortingProblemExIifLi1ELb0ELb1ELb1ELb1ELi0EEEEENS4_5KargsEEEvT0_,"axG",@progbits,_ZN5aiter22opus_moe_sorting_entryINS_16MoeSortingKernelINS_19MoeSortingProblemExIifLi1ELb0ELb1ELb1ELb1ELi0EEEEENS4_5KargsEEEvT0_,comdat
	.protected	_ZN5aiter22opus_moe_sorting_entryINS_16MoeSortingKernelINS_19MoeSortingProblemExIifLi1ELb0ELb1ELb1ELb1ELi0EEEEENS4_5KargsEEEvT0_ ; -- Begin function _ZN5aiter22opus_moe_sorting_entryINS_16MoeSortingKernelINS_19MoeSortingProblemExIifLi1ELb0ELb1ELb1ELb1ELi0EEEEENS4_5KargsEEEvT0_
	.globl	_ZN5aiter22opus_moe_sorting_entryINS_16MoeSortingKernelINS_19MoeSortingProblemExIifLi1ELb0ELb1ELb1ELb1ELi0EEEEENS4_5KargsEEEvT0_
	.p2align	8
	.type	_ZN5aiter22opus_moe_sorting_entryINS_16MoeSortingKernelINS_19MoeSortingProblemExIifLi1ELb0ELb1ELb1ELb1ELi0EEEEENS4_5KargsEEEvT0_,@function
_ZN5aiter22opus_moe_sorting_entryINS_16MoeSortingKernelINS_19MoeSortingProblemExIifLi1ELb0ELb1ELb1ELb1ELi0EEEEENS4_5KargsEEEvT0_: ; @_ZN5aiter22opus_moe_sorting_entryINS_16MoeSortingKernelINS_19MoeSortingProblemExIifLi1ELb0ELb1ELb1ELb1ELi0EEEEENS4_5KargsEEEvT0_
; %bb.0:
	s_clause 0x2
	s_load_b512 s[16:31], s[0:1], 0x0
	s_load_b128 s[40:43], s[0:1], 0x40
	s_load_b128 s[36:39], s[0:1], 0x54
	s_cmp_eq_u32 s15, 0
	s_waitcnt lgkmcnt(0)
	s_load_b32 s22, s[22:23], 0x0
	s_cbranch_scc1 .LBB12_7
; %bb.1:
	s_cmp_eq_u64 s[40:41], 0
	s_cbranch_scc1 .LBB12_6
; %bb.2:
	s_waitcnt lgkmcnt(0)
	s_ashr_i32 s2, s22, 31
	s_mul_i32 s3, s38, s37
	s_mul_hi_i32 s5, s38, s37
	s_mul_i32 s2, s3, s2
	s_mul_hi_u32 s4, s3, s22
	s_mul_i32 s5, s5, s22
	s_add_i32 s2, s4, s2
	s_mul_i32 s3, s3, s22
	s_add_i32 s4, s2, s5
	v_mov_b32_e32 v2, 0
	s_ashr_i32 s2, s4, 31
	s_mov_b32 s7, 0
	s_lshr_b32 s2, s2, 28
	s_delay_alu instid0(SALU_CYCLE_1) | instskip(SKIP_2) | instid1(SALU_CYCLE_1)
	s_add_u32 s2, s3, s2
	s_addc_u32 s3, s4, 0
	s_lshl_b32 s4, s15, 8
	v_add3_u32 v1, v0, s4, 0xffffff00
	s_ashr_i64 s[4:5], s[2:3], 4
	s_mov_b32 s3, exec_lo
	s_delay_alu instid0(VALU_DEP_1)
	v_cmpx_gt_i64_e64 s[4:5], v[1:2]
	s_cbranch_execz .LBB12_5
; %bb.3:
	s_load_b32 s2, s[0:1], 0x90
	v_lshlrev_b64 v[3:4], 4, v[1:2]
	v_dual_mov_b32 v6, v2 :: v_dual_mov_b32 v5, v1
	v_mov_b32_e32 v1, v2
	s_delay_alu instid0(VALU_DEP_3) | instskip(NEXT) | instid1(VALU_DEP_4)
	v_add_co_u32 v7, vcc_lo, s40, v3
	v_add_co_ci_u32_e32 v8, vcc_lo, s41, v4, vcc_lo
	v_mov_b32_e32 v3, v2
	v_mov_b32_e32 v4, v2
	s_waitcnt lgkmcnt(0)
	s_lshl_b32 s2, s2, 8
	s_delay_alu instid0(SALU_CYCLE_1) | instskip(NEXT) | instid1(SALU_CYCLE_1)
	s_add_i32 s6, s2, 0xffffff00
	s_lshl_b64 s[8:9], s[6:7], 4
.LBB12_4:                               ; =>This Inner Loop Header: Depth=1
	v_add_co_u32 v5, vcc_lo, v5, s6
	v_add_co_ci_u32_e32 v6, vcc_lo, 0, v6, vcc_lo
	global_store_b128 v[7:8], v[1:4], off
	v_add_co_u32 v7, s2, v7, s8
	v_cmp_le_i64_e32 vcc_lo, s[4:5], v[5:6]
	v_add_co_ci_u32_e64 v8, s2, s9, v8, s2
	s_or_b32 s7, vcc_lo, s7
	s_delay_alu instid0(SALU_CYCLE_1)
	s_and_not1_b32 exec_lo, exec_lo, s7
	s_cbranch_execnz .LBB12_4
.LBB12_5:
	s_or_b32 exec_lo, exec_lo, s3
.LBB12_6:
	s_cbranch_execz .LBB12_8
	s_branch .LBB12_85
.LBB12_7:
.LBB12_8:
	s_clause 0x1
	s_load_b256 s[4:11], s[0:1], 0x64
	s_load_b64 s[12:13], s[0:1], 0x84
	v_lshrrev_b32_e32 v1, 5, v0
	v_lshlrev_b32_e32 v7, 2, v0
	s_add_i32 s34, s36, 1
	s_delay_alu instid0(VALU_DEP_2) | instskip(SKIP_2) | instid1(SALU_CYCLE_1)
	v_readfirstlane_b32 s40, v1
	s_waitcnt lgkmcnt(0)
	s_add_i32 s23, s4, -2
	s_mul_i32 s33, s23, s36
	s_delay_alu instid0(SALU_CYCLE_1) | instskip(NEXT) | instid1(VALU_DEP_1)
	v_cmp_gt_i32_e64 s0, s33, v0
	s_and_saveexec_b32 s35, s0
	s_cbranch_execz .LBB12_11
; %bb.9:
	s_lshl_b32 s1, s36, 3
	v_mad_u64_u32 v[1:2], null, v0, s12, 0
	s_add_i32 s1, s1, 0
	v_dual_mov_b32 v4, 0 :: v_dual_mov_b32 v5, v0
	v_add3_u32 v3, s1, v7, 8
	s_mov_b32 s3, 0
	s_sub_i32 s14, s34, s11
	s_mov_b32 s2, s12
	s_lshl_b32 s37, s14, 2
	s_lshl_b64 s[14:15], s[2:3], 8
	.p2align	6
.LBB12_10:                              ; =>This Inner Loop Header: Depth=1
	v_add_nc_u32_e32 v6, v5, v2
	v_add_nc_u32_e32 v5, 0x100, v5
	v_add_co_u32 v1, vcc_lo, v1, s14
	v_add_co_ci_u32_e32 v2, vcc_lo, s15, v2, vcc_lo
	s_delay_alu instid0(VALU_DEP_4) | instskip(NEXT) | instid1(VALU_DEP_4)
	v_lshrrev_b32_e32 v6, s13, v6
	v_cmp_le_i32_e64 s1, s33, v5
	s_delay_alu instid0(VALU_DEP_2) | instskip(SKIP_1) | instid1(VALU_DEP_3)
	v_mad_u64_u32 v[8:9], null, s37, v6, v[3:4]
	v_add_nc_u32_e32 v3, 0x400, v3
	s_or_b32 s3, s1, s3
	ds_store_b32 v8, v4
	s_and_not1_b32 exec_lo, exec_lo, s3
	s_cbranch_execnz .LBB12_10
.LBB12_11:
	s_or_b32 exec_lo, exec_lo, s35
	s_lshl_b32 s1, s34, 3
	s_mul_i32 s37, s8, s23
	s_add_i32 s35, s1, 0
	v_cmp_gt_i32_e32 vcc_lo, s37, v0
	s_cmp_gt_i32 s22, 0
	s_mov_b32 s3, 0
	s_cselect_b32 s39, -1, 0
	s_cmp_lt_i32 s22, 1
	s_waitcnt lgkmcnt(0)
	s_waitcnt_vscnt null, 0x0
	s_barrier
	buffer_gl0_inv
	s_cbranch_scc1 .LBB12_19
; %bb.12:
	v_mad_u64_u32 v[1:2], null, v0, s9, 0
	v_mov_b32_e32 v4, 0
	s_mov_b32 s2, s9
	s_mov_b32 s38, 0
	s_lshl_b64 s[14:15], s[2:3], 8
	s_branch .LBB12_14
.LBB12_13:                              ;   in Loop: Header=BB12_14 Depth=1
	s_set_inst_prefetch_distance 0x2
	s_or_b32 exec_lo, exec_lo, s41
	s_add_i32 s38, s38, s23
	s_add_i32 s3, s3, s37
	s_cmp_ge_i32 s38, s22
	s_waitcnt lgkmcnt(0)
	s_barrier
	buffer_gl0_inv
	s_cbranch_scc1 .LBB12_19
.LBB12_14:                              ; =>This Loop Header: Depth=1
                                        ;     Child Loop BB12_17 Depth 2
	s_and_saveexec_b32 s41, vcc_lo
	s_cbranch_execz .LBB12_13
; %bb.15:                               ;   in Loop: Header=BB12_14 Depth=1
	v_dual_mov_b32 v6, v2 :: v_dual_mov_b32 v5, v1
	v_mov_b32_e32 v8, v0
	s_mov_b32 s44, 0
	s_set_inst_prefetch_distance 0x1
	s_branch .LBB12_17
	.p2align	6
.LBB12_16:                              ;   in Loop: Header=BB12_17 Depth=2
	s_or_b32 exec_lo, exec_lo, s2
	v_add_nc_u32_e32 v8, 0x100, v8
	v_add_co_u32 v5, s2, v5, s14
	s_delay_alu instid0(VALU_DEP_1) | instskip(NEXT) | instid1(VALU_DEP_3)
	v_add_co_ci_u32_e64 v6, s2, s15, v6, s2
	v_cmp_le_i32_e64 s1, s37, v8
	s_waitcnt vmcnt(48) lgkmcnt(7)
	s_delay_alu instid0(VALU_DEP_1) | instskip(NEXT) | instid1(SALU_CYCLE_1)
	s_or_b32 s44, s1, s44
	s_and_not1_b32 exec_lo, exec_lo, s44
	s_cbranch_execz .LBB12_13
.LBB12_17:                              ;   Parent Loop BB12_14 Depth=1
                                        ; =>  This Inner Loop Header: Depth=2
	s_delay_alu instid0(VALU_DEP_1) | instskip(SKIP_1) | instid1(VALU_DEP_1)
	v_add_nc_u32_e32 v3, v8, v6
	s_mov_b32 s2, exec_lo
	v_lshrrev_b32_e32 v9, s10, v3
	s_delay_alu instid0(VALU_DEP_1) | instskip(NEXT) | instid1(VALU_DEP_1)
	v_add_nc_u32_e32 v3, s38, v9
	v_cmpx_gt_i32_e64 s22, v3
	s_cbranch_execz .LBB12_16
; %bb.18:                               ;   in Loop: Header=BB12_17 Depth=2
	v_add_nc_u32_e32 v3, s3, v8
	v_mul_lo_u32 v9, v9, s34
	s_delay_alu instid0(VALU_DEP_2) | instskip(NEXT) | instid1(VALU_DEP_2)
	v_lshlrev_b64 v[10:11], 2, v[3:4]
	v_lshlrev_b32_e32 v9, 2, v9
	s_delay_alu instid0(VALU_DEP_2) | instskip(NEXT) | instid1(VALU_DEP_1)
	v_add_co_u32 v10, s1, s16, v10
	v_add_co_ci_u32_e64 v11, s1, s17, v11, s1
	global_load_b32 v3, v[10:11], off
	s_waitcnt vmcnt(0)
	v_lshlrev_b32_e32 v3, 2, v3
	s_delay_alu instid0(VALU_DEP_1)
	v_add3_u32 v3, s35, v3, v9
	ds_load_b32 v9, v3
	s_waitcnt lgkmcnt(0)
	v_add_nc_u32_e32 v9, 1, v9
	ds_store_b32 v3, v9
	s_branch .LBB12_16
.LBB12_19:
	s_mov_b32 s1, exec_lo
	v_cmpx_eq_u32_e32 0, v0
	s_cbranch_execz .LBB12_21
; %bb.20:
	v_mov_b32_e32 v1, 0
	ds_store_b32 v1, v1
.LBB12_21:
	s_or_b32 exec_lo, exec_lo, s1
	v_and_b32_e32 v9, 7, v0
	v_lshrrev_b32_e32 v10, 3, v0
	v_mbcnt_lo_u32_b32 v12, -1, 0
	s_mov_b32 s14, 0
	s_delay_alu instid0(VALU_DEP_3) | instskip(NEXT) | instid1(VALU_DEP_3)
	v_mul_lo_u32 v1, s34, v9
	v_cmp_gt_i32_e64 s1, s36, v10
	v_lshlrev_b32_e32 v11, 2, v10
	s_delay_alu instid0(VALU_DEP_3) | instskip(NEXT) | instid1(VALU_DEP_3)
	v_lshlrev_b32_e32 v8, 2, v1
	s_and_saveexec_b32 s3, s1
	s_cbranch_execz .LBB12_29
; %bb.22:
	s_cmp_gt_i32 s4, 2
	v_lshlrev_b32_e32 v3, 2, v12
	s_cselect_b32 s4, -1, 0
	s_lshl_b32 s2, s36, 3
	v_mov_b32_e32 v5, v10
	v_add3_u32 v4, v8, s2, v11
	v_cmp_eq_u32_e64 s2, 0, v9
	v_xor_b32_e32 v1, 4, v3
	v_xor_b32_e32 v2, 8, v3
	v_xor_b32_e32 v3, 16, v3
	v_add3_u32 v4, v4, 0, 8
	s_lshl_b32 s15, s36, 5
	s_delay_alu instid0(SALU_CYCLE_1)
	s_add_i32 s15, s15, 32
	s_set_inst_prefetch_distance 0x1
	s_branch .LBB12_24
	.p2align	6
.LBB12_23:                              ;   in Loop: Header=BB12_24 Depth=1
	s_or_b32 exec_lo, exec_lo, s38
	v_add_nc_u32_e32 v5, 32, v5
	v_add_nc_u32_e32 v4, 0x80, v4
	s_delay_alu instid0(VALU_DEP_2) | instskip(SKIP_1) | instid1(SALU_CYCLE_1)
	v_cmp_le_i32_e32 vcc_lo, s36, v5
	s_or_b32 s14, vcc_lo, s14
	s_and_not1_b32 exec_lo, exec_lo, s14
	s_cbranch_execz .LBB12_29
.LBB12_24:                              ; =>This Loop Header: Depth=1
                                        ;     Child Loop BB12_26 Depth 2
	v_mov_b32_e32 v6, 0
	s_and_not1_b32 vcc_lo, exec_lo, s4
	s_cbranch_vccnz .LBB12_27
; %bb.25:                               ;   in Loop: Header=BB12_24 Depth=1
	v_dual_mov_b32 v6, 0 :: v_dual_mov_b32 v13, v4
	s_mov_b32 s38, 0
.LBB12_26:                              ;   Parent Loop BB12_24 Depth=1
                                        ; =>  This Inner Loop Header: Depth=2
	ds_load_b32 v14, v13
	v_add_nc_u32_e32 v13, s15, v13
	s_add_i32 s38, s38, 8
	s_delay_alu instid0(SALU_CYCLE_1)
	s_cmp_ge_i32 s38, s23
	s_waitcnt lgkmcnt(0)
	ds_bpermute_b32 v15, v1, v14
	s_waitcnt lgkmcnt(0)
	v_add_nc_u32_e32 v14, v15, v14
	ds_bpermute_b32 v15, v2, v14
	s_waitcnt lgkmcnt(0)
	v_add_nc_u32_e32 v14, v15, v14
	ds_bpermute_b32 v15, v3, v14
	s_waitcnt lgkmcnt(0)
	v_add3_u32 v6, v14, v6, v15
	s_cbranch_scc0 .LBB12_26
.LBB12_27:                              ;   in Loop: Header=BB12_24 Depth=1
	s_and_saveexec_b32 s38, s2
	s_cbranch_execz .LBB12_23
; %bb.28:                               ;   in Loop: Header=BB12_24 Depth=1
	v_lshl_add_u32 v13, v5, 2, 0
	ds_store_b32 v13, v6 offset:4
	s_branch .LBB12_23
.LBB12_29:
	s_set_inst_prefetch_distance 0x2
	s_or_b32 exec_lo, exec_lo, s3
	s_lshl_b32 s14, s36, 2
	v_cmp_gt_i32_e64 s2, s36, v0
	s_add_i32 s15, s14, 0
	s_delay_alu instid0(SALU_CYCLE_1)
	v_dual_mov_b32 v1, 0 :: v_dual_mov_b32 v2, s15
	s_mov_b32 s4, 0
	ds_store_b32 v2, v1 offset:4
	s_and_saveexec_b32 s38, s2
	s_cbranch_execz .LBB12_32
; %bb.30:
	v_add_co_u32 v1, s3, s20, v7
	v_add3_u32 v3, s15, v7, 8
	v_add_co_ci_u32_e64 v2, null, s21, 0, s3
	v_mov_b32_e32 v4, v0
	.p2align	6
.LBB12_31:                              ; =>This Inner Loop Header: Depth=1
	global_load_b32 v5, v[1:2], off
	v_add_nc_u32_e32 v4, 0x100, v4
	v_add_co_u32 v1, vcc_lo, 0x400, v1
	v_add_co_ci_u32_e32 v2, vcc_lo, 0, v2, vcc_lo
	s_delay_alu instid0(VALU_DEP_3) | instskip(NEXT) | instid1(VALU_DEP_1)
	v_cmp_le_i32_e64 s3, s36, v4
	s_or_b32 s4, s3, s4
	s_waitcnt vmcnt(0)
	ds_store_b32 v3, v5
	v_add_nc_u32_e32 v3, 0x400, v3
	s_and_not1_b32 exec_lo, exec_lo, s4
	s_cbranch_execnz .LBB12_31
.LBB12_32:
	s_or_b32 exec_lo, exec_lo, s38
	s_add_i32 s38, s15, 4
	s_cmp_lg_u32 s40, 0
	s_mov_b32 s40, 0
	s_waitcnt lgkmcnt(0)
	s_barrier
	buffer_gl0_inv
	s_cbranch_scc1 .LBB12_43
; %bb.33:
	v_mov_b32_e32 v1, 0
	s_cmp_lt_i32 s36, 1
	s_cbranch_scc1 .LBB12_40
; %bb.34:
	v_lshlrev_b32_e32 v1, 2, v12
	v_cmp_eq_u32_e32 vcc_lo, 0, v12
	v_cmp_lt_u32_e64 s3, 15, v12
	s_add_i32 s41, s5, -1
	s_delay_alu instid0(VALU_DEP_3) | instskip(SKIP_1) | instid1(VALU_DEP_2)
	v_and_b32_e32 v2, 64, v1
	v_add_nc_u32_e32 v3, 0, v1
	v_add_nc_u32_e32 v2, -4, v2
	s_branch .LBB12_36
.LBB12_35:                              ;   in Loop: Header=BB12_36 Depth=1
	s_or_b32 exec_lo, exec_lo, s44
	v_add_nc_u32_e32 v3, 0x80, v3
	s_add_i32 s40, s40, 32
	s_waitcnt vmcnt(48) lgkmcnt(7)
	s_cmp_lt_i32 s40, s36
	s_cbranch_scc0 .LBB12_40
.LBB12_36:                              ; =>This Inner Loop Header: Depth=1
	ds_load_b32 v1, v3 offset:4
	v_add_nc_u32_e32 v4, s14, v3
	s_waitcnt lgkmcnt(1)
	v_cndmask_b32_e64 v6, 0, s40, vcc_lo
	ds_load_b32 v5, v4 offset:8
	v_lshlrev_b32_e32 v6, 2, v6
	s_delay_alu instid0(VALU_DEP_1) | instskip(SKIP_4) | instid1(VALU_DEP_1)
	v_add_nc_u32_e32 v14, 0, v6
	v_add_nc_u32_e32 v6, s38, v6
	ds_load_b32 v6, v6
	s_waitcnt lgkmcnt(2)
	v_add_nc_u32_e32 v1, s41, v1
	v_mul_hi_u32 v13, v1, s6
	s_waitcnt lgkmcnt(1)
	v_cmp_ne_u32_e64 s4, 0, v5
	s_delay_alu instid0(VALU_DEP_2) | instskip(SKIP_3) | instid1(VALU_DEP_1)
	v_add_nc_u32_e32 v1, v1, v13
	ds_load_b32 v13, v14
	v_add_nc_u32_e32 v14, s40, v12
	v_lshrrev_b32_e32 v1, s7, v1
	v_mul_lo_u32 v1, v1, s5
	s_delay_alu instid0(VALU_DEP_1) | instskip(NEXT) | instid1(VALU_DEP_4)
	v_cndmask_b32_e64 v1, 0, v1, s4
	v_cmp_gt_i32_e64 s4, s36, v14
	s_waitcnt lgkmcnt(0)
	s_delay_alu instid0(VALU_DEP_2) | instskip(NEXT) | instid1(VALU_DEP_1)
	v_add_nc_u32_e32 v1, v1, v13
	v_add_nc_u32_dpp v1, v1, v1 row_shr:1 row_mask:0xf bank_mask:0xf bound_ctrl:1
	s_delay_alu instid0(VALU_DEP_1) | instskip(NEXT) | instid1(VALU_DEP_1)
	v_add_nc_u32_dpp v1, v1, v1 row_shr:2 row_mask:0xf bank_mask:0xf bound_ctrl:1
	v_add_nc_u32_dpp v1, v1, v1 row_shr:4 row_mask:0xf bank_mask:0xf bound_ctrl:1
	s_delay_alu instid0(VALU_DEP_1) | instskip(SKIP_3) | instid1(VALU_DEP_1)
	v_add_nc_u32_dpp v1, v1, v1 row_shr:8 row_mask:0xf bank_mask:0xf bound_ctrl:1
	ds_bpermute_b32 v13, v2, v1
	s_waitcnt lgkmcnt(0)
	v_cndmask_b32_e64 v13, 0, v13, s3
	v_add_nc_u32_e32 v1, v1, v13
	s_and_saveexec_b32 s44, s4
	s_cbranch_execz .LBB12_38
; %bb.37:                               ;   in Loop: Header=BB12_36 Depth=1
	ds_store_b32 v3, v1 offset:4
.LBB12_38:                              ;   in Loop: Header=BB12_36 Depth=1
	s_or_b32 exec_lo, exec_lo, s44
	v_add_nc_u32_e32 v5, v5, v6
	s_delay_alu instid0(VALU_DEP_1) | instskip(NEXT) | instid1(VALU_DEP_1)
	v_add_nc_u32_dpp v5, v5, v5 row_shr:1 row_mask:0xf bank_mask:0xf bound_ctrl:1
	v_add_nc_u32_dpp v5, v5, v5 row_shr:2 row_mask:0xf bank_mask:0xf bound_ctrl:1
	s_delay_alu instid0(VALU_DEP_1) | instskip(NEXT) | instid1(VALU_DEP_1)
	v_add_nc_u32_dpp v5, v5, v5 row_shr:4 row_mask:0xf bank_mask:0xf bound_ctrl:1
	v_add_nc_u32_dpp v5, v5, v5 row_shr:8 row_mask:0xf bank_mask:0xf bound_ctrl:1
	ds_bpermute_b32 v6, v2, v5
	s_and_saveexec_b32 s44, s4
	s_cbranch_execz .LBB12_35
; %bb.39:                               ;   in Loop: Header=BB12_36 Depth=1
	s_waitcnt lgkmcnt(0)
	v_cndmask_b32_e64 v6, 0, v6, s3
	s_delay_alu instid0(VALU_DEP_1)
	v_add_nc_u32_e32 v5, v6, v5
	ds_store_b32 v4, v5 offset:8
	s_branch .LBB12_35
.LBB12_40:
	v_add3_u32 v2, v12, s40, 0xffffffe1
	s_mov_b32 s3, exec_lo
	s_delay_alu instid0(VALU_DEP_1)
	v_cmpx_eq_u32_e64 s36, v2
	s_cbranch_execz .LBB12_42
; %bb.41:
	v_dual_mov_b32 v3, 0 :: v_dual_mov_b32 v2, s22
	global_store_b64 v3, v[1:2], s[30:31]
.LBB12_42:
	s_or_b32 exec_lo, exec_lo, s3
.LBB12_43:
	s_cmp_eq_u64 s[42:43], 0
	s_waitcnt lgkmcnt(0)
	s_waitcnt_vscnt null, 0x0
	s_barrier
	buffer_gl0_inv
	s_cbranch_scc1 .LBB12_50
; %bb.44:
	s_mul_i32 s4, s22, s8
	s_mov_b32 s30, exec_lo
	v_cmpx_gt_i32_e64 s4, v0
	s_cbranch_execz .LBB12_49
; %bb.45:
	v_add_co_u32 v1, s3, s16, v7
	s_delay_alu instid0(VALU_DEP_1) | instskip(SKIP_1) | instid1(VALU_DEP_1)
	v_add_co_ci_u32_e64 v2, null, s17, 0, s3
	v_add_co_u32 v3, s3, s42, v7
	v_add_co_ci_u32_e64 v4, null, s43, 0, s3
	v_mov_b32_e32 v13, v0
	s_mov_b32 s31, 0
	s_set_inst_prefetch_distance 0x1
	s_branch .LBB12_47
	.p2align	6
.LBB12_46:                              ;   in Loop: Header=BB12_47 Depth=1
	s_or_b32 exec_lo, exec_lo, s3
	v_add_nc_u32_e32 v13, 0x100, v13
	v_add_co_u32 v1, vcc_lo, 0x400, v1
	v_add_co_ci_u32_e32 v2, vcc_lo, 0, v2, vcc_lo
	s_waitcnt lgkmcnt(0)
	global_store_b32 v[3:4], v6, off
	v_cmp_le_i32_e32 vcc_lo, s4, v13
	v_add_co_u32 v3, s3, 0x400, v3
	s_delay_alu instid0(VALU_DEP_1) | instskip(SKIP_1) | instid1(SALU_CYCLE_1)
	v_add_co_ci_u32_e64 v4, s3, 0, v4, s3
	s_or_b32 s31, vcc_lo, s31
	s_and_not1_b32 exec_lo, exec_lo, s31
	s_cbranch_execz .LBB12_49
.LBB12_47:                              ; =>This Inner Loop Header: Depth=1
	global_load_b32 v5, v[1:2], off
	s_waitcnt vmcnt(0)
	v_ashrrev_i32_e32 v6, 31, v5
	s_delay_alu instid0(VALU_DEP_1) | instskip(NEXT) | instid1(VALU_DEP_1)
	v_lshlrev_b64 v[14:15], 2, v[5:6]
	v_add_co_u32 v14, vcc_lo, s20, v14
	s_delay_alu instid0(VALU_DEP_2)
	v_add_co_ci_u32_e32 v15, vcc_lo, s21, v15, vcc_lo
	global_load_b32 v6, v[14:15], off
	s_waitcnt vmcnt(0)
	v_cmp_ne_u32_e32 vcc_lo, 0, v6
	v_mov_b32_e32 v6, -1
	s_and_saveexec_b32 s3, vcc_lo
	s_cbranch_execz .LBB12_46
; %bb.48:                               ;   in Loop: Header=BB12_47 Depth=1
	v_lshl_add_u32 v5, v5, 2, s38
	ds_load_b32 v6, v5
	s_branch .LBB12_46
.LBB12_49:
	s_set_inst_prefetch_distance 0x2
	s_or_b32 exec_lo, exec_lo, s30
	s_waitcnt_vscnt null, 0x0
	s_barrier
	buffer_gl0_inv
.LBB12_50:
	s_and_saveexec_b32 s4, s2
	s_cbranch_execz .LBB12_57
; %bb.51:
	v_dual_mov_b32 v2, 0 :: v_dual_mov_b32 v3, v0
	s_mov_b32 s30, 0
	s_branch .LBB12_53
.LBB12_52:                              ;   in Loop: Header=BB12_53 Depth=1
	s_or_b32 exec_lo, exec_lo, s31
	v_add_nc_u32_e32 v3, 0x100, v3
	s_delay_alu instid0(VALU_DEP_1) | instskip(SKIP_1) | instid1(SALU_CYCLE_1)
	v_cmp_le_i32_e32 vcc_lo, s36, v3
	s_or_b32 s30, vcc_lo, s30
	s_and_not1_b32 exec_lo, exec_lo, s30
	s_cbranch_execz .LBB12_57
.LBB12_53:                              ; =>This Loop Header: Depth=1
                                        ;     Child Loop BB12_56 Depth 2
	s_delay_alu instid0(VALU_DEP_1) | instskip(SKIP_1) | instid1(VALU_DEP_1)
	v_lshlrev_b32_e32 v1, 2, v3
	s_mov_b32 s31, exec_lo
	v_add_nc_u32_e32 v4, 0, v1
	v_add_nc_u32_e32 v1, s38, v1
	ds_load_2addr_b32 v[5:6], v4 offset1:1
	s_waitcnt lgkmcnt(2)
	ds_load_b32 v13, v1
	s_waitcnt lgkmcnt(1)
	ds_store_b32 v1, v5
	v_cmpx_ne_u32_e64 v5, v6
	s_cbranch_execz .LBB12_52
; %bb.54:                               ;   in Loop: Header=BB12_53 Depth=1
	v_mov_b32_e32 v4, v2
	v_cmp_lt_i32_e64 s3, v5, v6
	s_delay_alu instid0(VALU_DEP_2) | instskip(NEXT) | instid1(VALU_DEP_1)
	v_lshlrev_b64 v[14:15], 2, v[3:4]
	v_add_co_u32 v14, vcc_lo, s20, v14
	s_delay_alu instid0(VALU_DEP_2) | instskip(SKIP_4) | instid1(SALU_CYCLE_1)
	v_add_co_ci_u32_e32 v15, vcc_lo, s21, v15, vcc_lo
	global_load_b32 v1, v[14:15], off
	s_waitcnt vmcnt(0)
	v_cmp_ne_u32_e32 vcc_lo, 0, v1
	s_and_b32 s3, s3, vcc_lo
	s_and_b32 exec_lo, exec_lo, s3
	s_cbranch_execz .LBB12_52
; %bb.55:                               ;   in Loop: Header=BB12_53 Depth=1
	s_mov_b32 s40, 0
	.p2align	6
.LBB12_56:                              ;   Parent Loop BB12_53 Depth=1
                                        ; =>  This Inner Loop Header: Depth=2
	v_mul_hi_u32 v1, s6, v5
	s_delay_alu instid0(VALU_DEP_1) | instskip(SKIP_1) | instid1(VALU_DEP_2)
	v_add_nc_u32_e32 v1, v5, v1
	v_add_nc_u32_e32 v5, s5, v5
	v_lshrrev_b32_e32 v1, s7, v1
	s_delay_alu instid0(VALU_DEP_2) | instskip(NEXT) | instid1(VALU_DEP_2)
	v_cmp_ge_i32_e32 vcc_lo, v5, v6
	v_lshlrev_b64 v[14:15], 2, v[1:2]
	s_or_b32 s40, vcc_lo, s40
	s_delay_alu instid0(VALU_DEP_1) | instskip(NEXT) | instid1(VALU_DEP_1)
	v_add_co_u32 v14, s3, s28, v14
	v_add_co_ci_u32_e64 v15, s3, s29, v15, s3
	s_waitcnt lgkmcnt(1)
	global_store_b32 v[14:15], v13, off
	s_and_not1_b32 exec_lo, exec_lo, s40
	s_cbranch_execnz .LBB12_56
	s_branch .LBB12_52
.LBB12_57:
	s_or_b32 exec_lo, exec_lo, s4
	s_add_i32 s3, s15, s14
	s_delay_alu instid0(SALU_CYCLE_1)
	v_dual_mov_b32 v1, s15 :: v_dual_mov_b32 v2, s3
	s_waitcnt lgkmcnt(0)
	s_waitcnt_vscnt null, 0x0
	s_barrier
	buffer_gl0_inv
	ds_load_b32 v1, v1
	s_and_not1_b32 vcc_lo, exec_lo, s39
	s_waitcnt lgkmcnt(0)
	ds_store_b32 v2, v1 offset:4
	s_cbranch_vccnz .LBB12_79
; %bb.58:
	s_sub_i32 s5, s34, s11
	s_add_u32 s11, s24, -4
	s_addc_u32 s28, s25, -1
	s_add_u32 s29, s18, -4
	s_addc_u32 s30, s19, -1
	v_dual_mov_b32 v6, 0 :: v_dual_and_b32 v1, 8, v12
	s_add_u32 s31, s26, -4
	s_addc_u32 s39, s27, -1
	s_lshl_b32 s18, s36, 3
	s_delay_alu instid0(VALU_DEP_1)
	v_cmp_eq_u32_e64 s4, 0, v1
	v_add3_u32 v5, v8, s18, v11
	v_mad_u64_u32 v[1:2], null, v0, s12, 0
	v_mad_u64_u32 v[3:4], null, v0, s9, 0
	v_mul_lo_u32 v11, s8, v9
	s_add_i32 s14, s18, 0
	s_mov_b32 s7, 0
	v_cmp_gt_i32_e32 vcc_lo, s37, v0
	v_cmp_gt_i32_e64 s3, s23, v9
	v_or_b32_e32 v12, 28, v7
	v_add3_u32 v13, s14, v7, 8
	v_add3_u32 v14, v5, 0, 8
	s_mov_b32 s6, s12
	s_mov_b32 s42, s9
	;; [unrolled: 1-line block ×3, first 2 shown]
	s_lshl_b32 s41, s36, 5
	s_lshl_b32 s40, s5, 2
	s_lshl_b64 s[14:15], s[6:7], 8
	s_sub_i32 s12, 0, s8
	s_lshl_b64 s[18:19], s[42:43], 8
	s_lshl_b32 s9, s8, 3
	s_add_i32 s41, s41, 32
	s_mov_b32 s42, s7
	s_branch .LBB12_60
.LBB12_59:                              ;   in Loop: Header=BB12_60 Depth=1
	s_or_b32 exec_lo, exec_lo, s43
	v_add_nc_u32_e32 v11, s37, v11
	s_add_i32 s42, s42, s23
	s_add_i32 s7, s7, s37
	s_cmp_ge_i32 s42, s22
	s_waitcnt lgkmcnt(0)
	s_waitcnt_vscnt null, 0x0
	s_barrier
	buffer_gl0_inv
	s_cbranch_scc1 .LBB12_79
.LBB12_60:                              ; =>This Loop Header: Depth=1
                                        ;     Child Loop BB12_62 Depth 2
                                        ;     Child Loop BB12_66 Depth 2
	;; [unrolled: 1-line block ×3, first 2 shown]
                                        ;       Child Loop BB12_77 Depth 3
	s_and_saveexec_b32 s43, s0
	s_cbranch_execz .LBB12_63
; %bb.61:                               ;   in Loop: Header=BB12_60 Depth=1
	v_dual_mov_b32 v8, v2 :: v_dual_mov_b32 v7, v1
	v_mov_b32_e32 v5, v13
	v_mov_b32_e32 v15, v0
	s_mov_b32 s44, 0
	.p2align	6
.LBB12_62:                              ;   Parent Loop BB12_60 Depth=1
                                        ; =>  This Inner Loop Header: Depth=2
	s_delay_alu instid0(VALU_DEP_1) | instskip(SKIP_2) | instid1(VALU_DEP_1)
	v_add_nc_u32_e32 v16, v15, v8
	v_add_nc_u32_e32 v15, 0x100, v15
	v_add_co_u32 v7, s5, v7, s14
	v_add_co_ci_u32_e64 v8, s5, s15, v8, s5
	s_delay_alu instid0(VALU_DEP_4) | instskip(NEXT) | instid1(VALU_DEP_4)
	v_lshrrev_b32_e32 v18, s13, v16
	v_cmp_le_i32_e64 s6, s33, v15
	s_delay_alu instid0(VALU_DEP_2) | instskip(SKIP_1) | instid1(VALU_DEP_3)
	v_mad_u64_u32 v[16:17], null, s40, v18, v[5:6]
	v_add_nc_u32_e32 v5, 0x400, v5
	s_or_b32 s44, s6, s44
	ds_store_b32 v16, v6
	s_and_not1_b32 exec_lo, exec_lo, s44
	s_cbranch_execnz .LBB12_62
.LBB12_63:                              ;   in Loop: Header=BB12_60 Depth=1
	s_or_b32 exec_lo, exec_lo, s43
	s_waitcnt lgkmcnt(0)
	s_barrier
	buffer_gl0_inv
	s_and_saveexec_b32 s43, vcc_lo
	s_cbranch_execz .LBB12_68
; %bb.64:                               ;   in Loop: Header=BB12_60 Depth=1
	v_dual_mov_b32 v8, v4 :: v_dual_mov_b32 v7, v3
	v_mov_b32_e32 v5, v0
	s_mov_b32 s44, 0
	s_set_inst_prefetch_distance 0x1
	s_branch .LBB12_66
	.p2align	6
.LBB12_65:                              ;   in Loop: Header=BB12_66 Depth=2
	s_or_b32 exec_lo, exec_lo, s6
	v_add_nc_u32_e32 v5, 0x100, v5
	v_add_co_u32 v7, s6, v7, s18
	s_delay_alu instid0(VALU_DEP_1) | instskip(NEXT) | instid1(VALU_DEP_3)
	v_add_co_ci_u32_e64 v8, s6, s19, v8, s6
	v_cmp_le_i32_e64 s5, s37, v5
	s_delay_alu instid0(VALU_DEP_1) | instskip(NEXT) | instid1(SALU_CYCLE_1)
	s_or_b32 s44, s5, s44
	s_and_not1_b32 exec_lo, exec_lo, s44
	s_cbranch_execz .LBB12_68
.LBB12_66:                              ;   Parent Loop BB12_60 Depth=1
                                        ; =>  This Inner Loop Header: Depth=2
	s_delay_alu instid0(VALU_DEP_1) | instskip(SKIP_1) | instid1(VALU_DEP_1)
	v_add_nc_u32_e32 v15, v5, v8
	s_mov_b32 s6, exec_lo
	v_lshrrev_b32_e32 v15, s10, v15
	s_delay_alu instid0(VALU_DEP_1) | instskip(NEXT) | instid1(VALU_DEP_1)
	v_add_nc_u32_e32 v16, s42, v15
	v_cmpx_gt_i32_e64 s22, v16
	s_cbranch_execz .LBB12_65
; %bb.67:                               ;   in Loop: Header=BB12_66 Depth=2
	v_add_nc_u32_e32 v16, s7, v5
	s_delay_alu instid0(VALU_DEP_1) | instskip(NEXT) | instid1(VALU_DEP_1)
	v_ashrrev_i32_e32 v17, 31, v16
	v_lshlrev_b64 v[16:17], 2, v[16:17]
	s_delay_alu instid0(VALU_DEP_1) | instskip(NEXT) | instid1(VALU_DEP_1)
	v_add_co_u32 v16, s5, s16, v16
	v_add_co_ci_u32_e64 v17, s5, s17, v17, s5
	global_load_b32 v16, v[16:17], off
	v_mul_lo_u32 v17, v15, s34
	v_mul_lo_u32 v15, s12, v15
	s_delay_alu instid0(VALU_DEP_2) | instskip(NEXT) | instid1(VALU_DEP_2)
	v_lshlrev_b32_e32 v17, 2, v17
	v_add3_u32 v15, v5, v15, 1
	s_waitcnt vmcnt(0)
	v_lshlrev_b32_e32 v16, 2, v16
	s_delay_alu instid0(VALU_DEP_1)
	v_add3_u32 v16, s35, v16, v17
	ds_store_b32 v16, v15
	s_branch .LBB12_65
.LBB12_68:                              ;   in Loop: Header=BB12_60 Depth=1
	s_set_inst_prefetch_distance 0x2
	s_or_b32 exec_lo, exec_lo, s43
	s_waitcnt lgkmcnt(0)
	s_barrier
	buffer_gl0_inv
	s_and_saveexec_b32 s43, s1
	s_cbranch_execz .LBB12_59
; %bb.69:                               ;   in Loop: Header=BB12_60 Depth=1
	v_mov_b32_e32 v7, v14
	v_mov_b32_e32 v5, v10
	s_mov_b32 s44, 0
	s_branch .LBB12_73
.LBB12_70:                              ;   in Loop: Header=BB12_73 Depth=2
	s_or_b32 exec_lo, exec_lo, s47
.LBB12_71:                              ;   in Loop: Header=BB12_73 Depth=2
	s_delay_alu instid0(SALU_CYCLE_1)
	s_or_b32 exec_lo, exec_lo, s46
	s_waitcnt lgkmcnt(0)
	ds_store_b32 v8, v15
.LBB12_72:                              ;   in Loop: Header=BB12_73 Depth=2
	s_or_b32 exec_lo, exec_lo, s45
	v_add_nc_u32_e32 v5, 32, v5
	v_add_nc_u32_e32 v7, 0x80, v7
	s_delay_alu instid0(VALU_DEP_2) | instskip(NEXT) | instid1(VALU_DEP_1)
	v_cmp_le_i32_e64 s5, s36, v5
	s_or_b32 s44, s5, s44
	s_delay_alu instid0(SALU_CYCLE_1)
	s_and_not1_b32 exec_lo, exec_lo, s44
	s_cbranch_execz .LBB12_59
.LBB12_73:                              ;   Parent Loop BB12_60 Depth=1
                                        ; =>  This Loop Header: Depth=2
                                        ;       Child Loop BB12_77 Depth 3
	s_delay_alu instid0(VALU_DEP_1) | instskip(SKIP_1) | instid1(VALU_DEP_1)
	v_lshlrev_b64 v[15:16], 2, v[5:6]
	s_mov_b32 s45, exec_lo
	v_add_co_u32 v15, s5, s20, v15
	s_delay_alu instid0(VALU_DEP_1)
	v_add_co_ci_u32_e64 v16, s5, s21, v16, s5
	global_load_b32 v8, v[15:16], off
	s_waitcnt vmcnt(0)
	v_cmpx_ne_u32_e32 0, v8
	s_cbranch_execz .LBB12_72
; %bb.74:                               ;   in Loop: Header=BB12_73 Depth=2
	v_lshl_add_u32 v8, v5, 2, 0
	ds_load_b32 v15, v8
	s_and_saveexec_b32 s46, s3
	s_cbranch_execz .LBB12_71
; %bb.75:                               ;   in Loop: Header=BB12_73 Depth=2
	v_mov_b32_e32 v16, v7
	v_dual_mov_b32 v17, v11 :: v_dual_mov_b32 v18, v9
	s_mov_b32 s47, 0
	s_branch .LBB12_77
.LBB12_76:                              ;   in Loop: Header=BB12_77 Depth=3
	s_or_b32 exec_lo, exec_lo, s6
	ds_bpermute_b32 v19, v12, v19
	v_add_nc_u32_e32 v18, 8, v18
	v_add_nc_u32_e32 v17, s9, v17
	;; [unrolled: 1-line block ×3, first 2 shown]
	s_delay_alu instid0(VALU_DEP_3) | instskip(NEXT) | instid1(VALU_DEP_1)
	v_cmp_le_i32_e64 s5, s23, v18
	s_or_b32 s47, s5, s47
	s_waitcnt lgkmcnt(0)
	v_add_nc_u32_e32 v15, v19, v15
	s_and_not1_b32 exec_lo, exec_lo, s47
	s_cbranch_execz .LBB12_70
.LBB12_77:                              ;   Parent Loop BB12_60 Depth=1
                                        ;     Parent Loop BB12_73 Depth=2
                                        ; =>    This Inner Loop Header: Depth=3
	ds_load_b32 v20, v16
	s_waitcnt lgkmcnt(0)
	v_cmp_ne_u32_e64 s5, 0, v20
	s_delay_alu instid0(VALU_DEP_1) | instskip(NEXT) | instid1(VALU_DEP_1)
	v_cndmask_b32_e64 v19, 0, 1, s5
	v_mov_b32_dpp v19, v19 row_shr:1 row_mask:0xf bank_mask:0xf bound_ctrl:1
	s_delay_alu instid0(VALU_DEP_1) | instskip(NEXT) | instid1(VALU_DEP_1)
	v_add_co_ci_u32_e64 v21, s6, 0, v19, s5
	v_mov_b32_dpp v21, v21 row_shr:2 row_mask:0xf bank_mask:0xf bound_ctrl:1
	s_delay_alu instid0(VALU_DEP_1) | instskip(NEXT) | instid1(VALU_DEP_1)
	v_add_co_ci_u32_e64 v19, s6, v21, v19, s5
	v_add_nc_u32_dpp v19, v19, v19 row_shr:4 row_mask:0xf bank_mask:0xf bound_ctrl:1
	s_delay_alu instid0(VALU_DEP_1) | instskip(NEXT) | instid1(VALU_DEP_1)
	v_add_nc_u32_dpp v19, v19, v19 row_shr:8 row_mask:0xf bank_mask:0xf bound_ctrl:1
	v_mov_b32_dpp v21, v19 row_share:7 row_mask:0xf bank_mask:0xf bound_ctrl:1
	s_delay_alu instid0(VALU_DEP_1) | instskip(NEXT) | instid1(VALU_DEP_1)
	v_cndmask_b32_e64 v21, v21, 0, s4
	v_sub_nc_u32_e32 v19, v19, v21
	s_and_saveexec_b32 s6, s5
	s_cbranch_execz .LBB12_76
; %bb.78:                               ;   in Loop: Header=BB12_77 Depth=3
	v_add_nc_u32_e32 v21, v17, v20
	v_add_nc_u32_e32 v23, s42, v18
	s_delay_alu instid0(VALU_DEP_2) | instskip(NEXT) | instid1(VALU_DEP_2)
	v_ashrrev_i32_e32 v22, 31, v21
	v_perm_b32 v23, v20, v23, 0x4020100
	s_delay_alu instid0(VALU_DEP_2) | instskip(NEXT) | instid1(VALU_DEP_2)
	v_lshlrev_b64 v[21:22], 2, v[21:22]
	v_add_nc_u32_e32 v25, 0xff000000, v23
	s_delay_alu instid0(VALU_DEP_2) | instskip(NEXT) | instid1(VALU_DEP_1)
	v_add_co_u32 v21, s5, s29, v21
	v_add_co_ci_u32_e64 v22, s5, s30, v22, s5
	global_load_b32 v24, v[21:22], off
	v_add_nc_u32_e32 v21, v19, v15
	s_delay_alu instid0(VALU_DEP_1) | instskip(NEXT) | instid1(VALU_DEP_1)
	v_ashrrev_i32_e32 v22, 31, v21
	v_lshlrev_b64 v[20:21], 2, v[21:22]
	s_delay_alu instid0(VALU_DEP_1) | instskip(NEXT) | instid1(VALU_DEP_1)
	v_add_co_u32 v22, s5, s11, v20
	v_add_co_ci_u32_e64 v23, s5, s28, v21, s5
	v_add_co_u32 v20, s5, s31, v20
	s_delay_alu instid0(VALU_DEP_1)
	v_add_co_ci_u32_e64 v21, s5, s39, v21, s5
	global_store_b32 v[22:23], v25, off
	s_waitcnt vmcnt(0)
	global_store_b32 v[20:21], v24, off
	s_branch .LBB12_76
.LBB12_79:
	s_and_saveexec_b32 s0, s2
	s_cbranch_execz .LBB12_85
; %bb.80:
	v_mov_b32_e32 v6, 0
	s_and_b32 s0, s22, 0xffffff
	s_lshl_b32 s1, s8, 24
	s_add_i32 s38, s38, 4
	s_or_b32 s1, s0, s1
	s_mov_b32 s2, 0
	s_set_inst_prefetch_distance 0x1
	s_branch .LBB12_82
	.p2align	6
.LBB12_81:                              ;   in Loop: Header=BB12_82 Depth=1
	s_or_b32 exec_lo, exec_lo, s3
	v_add_nc_u32_e32 v0, 0x100, v0
	s_delay_alu instid0(VALU_DEP_1) | instskip(SKIP_1) | instid1(SALU_CYCLE_1)
	v_cmp_le_i32_e32 vcc_lo, s36, v0
	s_or_b32 s2, vcc_lo, s2
	s_and_not1_b32 exec_lo, exec_lo, s2
	s_cbranch_execz .LBB12_85
.LBB12_82:                              ; =>This Loop Header: Depth=1
                                        ;     Child Loop BB12_84 Depth 2
	v_lshlrev_b32_e32 v1, 2, v0
	s_mov_b32 s3, exec_lo
	s_delay_alu instid0(VALU_DEP_1)
	v_add_nc_u32_e32 v2, 0, v1
	v_add_nc_u32_e32 v3, s38, v1
	ds_load_b32 v1, v2
	ds_load_b32 v7, v3
	s_waitcnt lgkmcnt(0)
	v_cmpx_lt_i32_e64 v1, v7
	s_cbranch_execz .LBB12_81
; %bb.83:                               ;   in Loop: Header=BB12_82 Depth=1
	v_ashrrev_i32_e32 v2, 31, v1
	s_mov_b32 s4, 0
	s_delay_alu instid0(VALU_DEP_1) | instskip(NEXT) | instid1(VALU_DEP_1)
	v_lshlrev_b64 v[4:5], 2, v[1:2]
	v_add_co_u32 v2, vcc_lo, s24, v4
	s_delay_alu instid0(VALU_DEP_2)
	v_add_co_ci_u32_e32 v3, vcc_lo, s25, v5, vcc_lo
	v_add_co_u32 v4, vcc_lo, s26, v4
	v_add_co_ci_u32_e32 v5, vcc_lo, s27, v5, vcc_lo
	.p2align	6
.LBB12_84:                              ;   Parent Loop BB12_82 Depth=1
                                        ; =>  This Inner Loop Header: Depth=2
	v_dual_mov_b32 v8, s1 :: v_dual_add_nc_u32 v1, 1, v1
	global_store_b32 v[4:5], v6, off
	v_add_co_u32 v4, vcc_lo, v4, 4
	v_add_co_ci_u32_e32 v5, vcc_lo, 0, v5, vcc_lo
	global_store_b32 v[2:3], v8, off
	v_cmp_ge_i32_e32 vcc_lo, v1, v7
	v_add_co_u32 v2, s0, v2, 4
	s_delay_alu instid0(VALU_DEP_1) | instskip(SKIP_1) | instid1(SALU_CYCLE_1)
	v_add_co_ci_u32_e64 v3, s0, 0, v3, s0
	s_or_b32 s4, vcc_lo, s4
	s_and_not1_b32 exec_lo, exec_lo, s4
	s_cbranch_execnz .LBB12_84
	s_branch .LBB12_81
.LBB12_85:
	s_set_inst_prefetch_distance 0x2
	s_nop 0
	s_sendmsg sendmsg(MSG_DEALLOC_VGPRS)
	s_endpgm
	.section	.rodata,"a",@progbits
	.p2align	6, 0x0
	.amdhsa_kernel _ZN5aiter22opus_moe_sorting_entryINS_16MoeSortingKernelINS_19MoeSortingProblemExIifLi1ELb0ELb1ELb1ELb1ELi0EEEEENS4_5KargsEEEvT0_
		.amdhsa_group_segment_fixed_size 0
		.amdhsa_private_segment_fixed_size 0
		.amdhsa_kernarg_size 400
		.amdhsa_user_sgpr_count 15
		.amdhsa_user_sgpr_dispatch_ptr 0
		.amdhsa_user_sgpr_queue_ptr 0
		.amdhsa_user_sgpr_kernarg_segment_ptr 1
		.amdhsa_user_sgpr_dispatch_id 0
		.amdhsa_user_sgpr_private_segment_size 0
		.amdhsa_wavefront_size32 1
		.amdhsa_uses_dynamic_stack 0
		.amdhsa_enable_private_segment 0
		.amdhsa_system_sgpr_workgroup_id_x 1
		.amdhsa_system_sgpr_workgroup_id_y 0
		.amdhsa_system_sgpr_workgroup_id_z 0
		.amdhsa_system_sgpr_workgroup_info 0
		.amdhsa_system_vgpr_workitem_id 0
		.amdhsa_next_free_vgpr 26
		.amdhsa_next_free_sgpr 48
		.amdhsa_reserve_vcc 1
		.amdhsa_float_round_mode_32 0
		.amdhsa_float_round_mode_16_64 0
		.amdhsa_float_denorm_mode_32 3
		.amdhsa_float_denorm_mode_16_64 3
		.amdhsa_dx10_clamp 1
		.amdhsa_ieee_mode 1
		.amdhsa_fp16_overflow 0
		.amdhsa_workgroup_processor_mode 1
		.amdhsa_memory_ordered 1
		.amdhsa_forward_progress 0
		.amdhsa_shared_vgpr_count 0
		.amdhsa_exception_fp_ieee_invalid_op 0
		.amdhsa_exception_fp_denorm_src 0
		.amdhsa_exception_fp_ieee_div_zero 0
		.amdhsa_exception_fp_ieee_overflow 0
		.amdhsa_exception_fp_ieee_underflow 0
		.amdhsa_exception_fp_ieee_inexact 0
		.amdhsa_exception_int_div_zero 0
	.end_amdhsa_kernel
	.section	.text._ZN5aiter22opus_moe_sorting_entryINS_16MoeSortingKernelINS_19MoeSortingProblemExIifLi1ELb0ELb1ELb1ELb1ELi0EEEEENS4_5KargsEEEvT0_,"axG",@progbits,_ZN5aiter22opus_moe_sorting_entryINS_16MoeSortingKernelINS_19MoeSortingProblemExIifLi1ELb0ELb1ELb1ELb1ELi0EEEEENS4_5KargsEEEvT0_,comdat
.Lfunc_end12:
	.size	_ZN5aiter22opus_moe_sorting_entryINS_16MoeSortingKernelINS_19MoeSortingProblemExIifLi1ELb0ELb1ELb1ELb1ELi0EEEEENS4_5KargsEEEvT0_, .Lfunc_end12-_ZN5aiter22opus_moe_sorting_entryINS_16MoeSortingKernelINS_19MoeSortingProblemExIifLi1ELb0ELb1ELb1ELb1ELi0EEEEENS4_5KargsEEEvT0_
                                        ; -- End function
	.section	.AMDGPU.csdata,"",@progbits
; Kernel info:
; codeLenInByte = 3916
; NumSgprs: 50
; NumVgprs: 26
; ScratchSize: 0
; MemoryBound: 0
; FloatMode: 240
; IeeeMode: 1
; LDSByteSize: 0 bytes/workgroup (compile time only)
; SGPRBlocks: 6
; VGPRBlocks: 3
; NumSGPRsForWavesPerEU: 50
; NumVGPRsForWavesPerEU: 26
; Occupancy: 16
; WaveLimiterHint : 1
; COMPUTE_PGM_RSRC2:SCRATCH_EN: 0
; COMPUTE_PGM_RSRC2:USER_SGPR: 15
; COMPUTE_PGM_RSRC2:TRAP_HANDLER: 0
; COMPUTE_PGM_RSRC2:TGID_X_EN: 1
; COMPUTE_PGM_RSRC2:TGID_Y_EN: 0
; COMPUTE_PGM_RSRC2:TGID_Z_EN: 0
; COMPUTE_PGM_RSRC2:TIDIG_COMP_CNT: 0
	.section	.text._ZN5aiter22opus_moe_sorting_entryINS_16MoeSortingKernelINS_19MoeSortingProblemExIifLi8ELb0ELb1ELb0ELb1ELi0EEEEENS4_5KargsEEEvT0_,"axG",@progbits,_ZN5aiter22opus_moe_sorting_entryINS_16MoeSortingKernelINS_19MoeSortingProblemExIifLi8ELb0ELb1ELb0ELb1ELi0EEEEENS4_5KargsEEEvT0_,comdat
	.protected	_ZN5aiter22opus_moe_sorting_entryINS_16MoeSortingKernelINS_19MoeSortingProblemExIifLi8ELb0ELb1ELb0ELb1ELi0EEEEENS4_5KargsEEEvT0_ ; -- Begin function _ZN5aiter22opus_moe_sorting_entryINS_16MoeSortingKernelINS_19MoeSortingProblemExIifLi8ELb0ELb1ELb0ELb1ELi0EEEEENS4_5KargsEEEvT0_
	.globl	_ZN5aiter22opus_moe_sorting_entryINS_16MoeSortingKernelINS_19MoeSortingProblemExIifLi8ELb0ELb1ELb0ELb1ELi0EEEEENS4_5KargsEEEvT0_
	.p2align	8
	.type	_ZN5aiter22opus_moe_sorting_entryINS_16MoeSortingKernelINS_19MoeSortingProblemExIifLi8ELb0ELb1ELb0ELb1ELi0EEEEENS4_5KargsEEEvT0_,@function
_ZN5aiter22opus_moe_sorting_entryINS_16MoeSortingKernelINS_19MoeSortingProblemExIifLi8ELb0ELb1ELb0ELb1ELi0EEEEENS4_5KargsEEEvT0_: ; @_ZN5aiter22opus_moe_sorting_entryINS_16MoeSortingKernelINS_19MoeSortingProblemExIifLi8ELb0ELb1ELb0ELb1ELi0EEEEENS4_5KargsEEEvT0_
; %bb.0:
	s_clause 0x1
	s_load_b256 s[16:23], s[0:1], 0x20
	s_load_b256 s[4:11], s[0:1], 0x40
	s_cmp_eq_u32 s15, 0
	s_cbranch_scc1 .LBB13_7
; %bb.1:
	s_waitcnt lgkmcnt(0)
	s_cmp_eq_u64 s[4:5], 0
	s_cbranch_scc1 .LBB13_6
; %bb.2:
	s_mul_i32 s2, s10, s8
	s_ashr_i32 s3, s11, 31
	s_mul_hi_u32 s12, s2, s11
	s_mul_i32 s3, s2, s3
	s_mul_hi_i32 s10, s10, s8
	s_add_i32 s3, s12, s3
	s_mul_i32 s10, s10, s11
	s_mul_i32 s2, s2, s11
	s_add_i32 s3, s3, s10
	v_mov_b32_e32 v2, 0
	s_ashr_i32 s10, s3, 31
	s_mov_b32 s13, 0
	s_lshr_b32 s10, s10, 28
	s_delay_alu instid0(SALU_CYCLE_1) | instskip(SKIP_2) | instid1(SALU_CYCLE_1)
	s_add_u32 s2, s2, s10
	s_addc_u32 s3, s3, 0
	s_lshl_b32 s10, s15, 8
	v_add3_u32 v1, v0, s10, 0xffffff00
	s_ashr_i64 s[10:11], s[2:3], 4
	s_mov_b32 s3, exec_lo
	s_delay_alu instid0(VALU_DEP_1)
	v_cmpx_gt_i64_e64 s[10:11], v[1:2]
	s_cbranch_execz .LBB13_5
; %bb.3:
	s_load_b32 s2, s[0:1], 0x90
	v_lshlrev_b64 v[3:4], 4, v[1:2]
	v_dual_mov_b32 v6, v2 :: v_dual_mov_b32 v5, v1
	v_mov_b32_e32 v1, v2
	s_delay_alu instid0(VALU_DEP_3) | instskip(NEXT) | instid1(VALU_DEP_4)
	v_add_co_u32 v7, vcc_lo, s4, v3
	v_add_co_ci_u32_e32 v8, vcc_lo, s5, v4, vcc_lo
	v_mov_b32_e32 v3, v2
	v_mov_b32_e32 v4, v2
	s_waitcnt lgkmcnt(0)
	s_lshl_b32 s2, s2, 8
	s_delay_alu instid0(SALU_CYCLE_1) | instskip(NEXT) | instid1(SALU_CYCLE_1)
	s_add_i32 s12, s2, 0xffffff00
	s_lshl_b64 s[4:5], s[12:13], 4
.LBB13_4:                               ; =>This Inner Loop Header: Depth=1
	v_add_co_u32 v5, vcc_lo, v5, s12
	v_add_co_ci_u32_e32 v6, vcc_lo, 0, v6, vcc_lo
	global_store_b128 v[7:8], v[1:4], off
	v_add_co_u32 v7, s2, v7, s4
	v_cmp_le_i64_e32 vcc_lo, s[10:11], v[5:6]
	v_add_co_ci_u32_e64 v8, s2, s5, v8, s2
	s_or_b32 s13, vcc_lo, s13
	s_delay_alu instid0(SALU_CYCLE_1)
	s_and_not1_b32 exec_lo, exec_lo, s13
	s_cbranch_execnz .LBB13_4
.LBB13_5:
	s_or_b32 exec_lo, exec_lo, s3
.LBB13_6:
	s_cbranch_execz .LBB13_8
	s_branch .LBB13_85
.LBB13_7:
.LBB13_8:
	s_clause 0x1
	s_load_b256 s[24:31], s[0:1], 0x64
	s_load_b128 s[12:15], s[0:1], 0x0
	s_waitcnt lgkmcnt(0)
	s_clause 0x1
	s_load_b64 s[10:11], s[0:1], 0x10
	s_load_b64 s[34:35], s[0:1], 0x84
	v_lshrrev_b32_e32 v1, 5, v0
	v_lshlrev_b32_e32 v7, 2, v0
	s_add_i32 s37, s9, 1
	s_delay_alu instid0(VALU_DEP_2) | instskip(SKIP_1) | instid1(SALU_CYCLE_1)
	v_readfirstlane_b32 s41, v1
	s_add_i32 s33, s24, -2
	s_mul_i32 s36, s33, s9
	s_delay_alu instid0(SALU_CYCLE_1) | instskip(NEXT) | instid1(VALU_DEP_1)
	v_cmp_gt_i32_e64 s0, s36, v0
	s_and_saveexec_b32 s38, s0
	s_cbranch_execz .LBB13_11
; %bb.9:
	s_lshl_b32 s1, s9, 3
	s_waitcnt lgkmcnt(0)
	v_mad_u64_u32 v[1:2], null, v0, s34, 0
	s_add_i32 s1, s1, 0
	v_dual_mov_b32 v4, 0 :: v_dual_mov_b32 v5, v0
	v_add3_u32 v3, s1, v7, 8
	s_mov_b32 s3, 0
	s_sub_i32 s4, s37, s31
	s_mov_b32 s2, s34
	s_lshl_b32 s39, s4, 2
	s_lshl_b64 s[4:5], s[2:3], 8
	.p2align	6
.LBB13_10:                              ; =>This Inner Loop Header: Depth=1
	v_add_nc_u32_e32 v6, v5, v2
	v_add_nc_u32_e32 v5, 0x100, v5
	v_add_co_u32 v1, vcc_lo, v1, s4
	v_add_co_ci_u32_e32 v2, vcc_lo, s5, v2, vcc_lo
	s_delay_alu instid0(VALU_DEP_4) | instskip(NEXT) | instid1(VALU_DEP_4)
	v_lshrrev_b32_e32 v6, s35, v6
	v_cmp_le_i32_e64 s1, s36, v5
	s_delay_alu instid0(VALU_DEP_2) | instskip(SKIP_1) | instid1(VALU_DEP_3)
	v_mad_u64_u32 v[8:9], null, s39, v6, v[3:4]
	v_add_nc_u32_e32 v3, 0x400, v3
	s_or_b32 s3, s1, s3
	ds_store_b32 v8, v4
	s_and_not1_b32 exec_lo, exec_lo, s3
	s_cbranch_execnz .LBB13_10
.LBB13_11:
	s_or_b32 exec_lo, exec_lo, s38
	s_lshl_b32 s1, s37, 3
	s_mul_i32 s39, s28, s33
	s_add_i32 s38, s1, 0
	v_cmp_gt_i32_e32 vcc_lo, s39, v0
	s_cmp_gt_i32 s8, 0
	s_mov_b32 s3, 0
	s_cselect_b32 s40, -1, 0
	s_cmp_lt_i32 s8, 1
	s_waitcnt lgkmcnt(0)
	s_waitcnt_vscnt null, 0x0
	s_barrier
	buffer_gl0_inv
	s_cbranch_scc1 .LBB13_19
; %bb.12:
	v_mad_u64_u32 v[1:2], null, v0, s29, 0
	v_mov_b32_e32 v4, 0
	s_mov_b32 s2, s29
	s_mov_b32 s42, 0
	s_lshl_b64 s[4:5], s[2:3], 8
	s_branch .LBB13_14
.LBB13_13:                              ;   in Loop: Header=BB13_14 Depth=1
	s_set_inst_prefetch_distance 0x2
	s_or_b32 exec_lo, exec_lo, s43
	s_add_i32 s42, s42, s33
	s_add_i32 s3, s3, s39
	s_cmp_ge_i32 s42, s8
	s_waitcnt lgkmcnt(0)
	s_barrier
	buffer_gl0_inv
	s_cbranch_scc1 .LBB13_19
.LBB13_14:                              ; =>This Loop Header: Depth=1
                                        ;     Child Loop BB13_17 Depth 2
	s_and_saveexec_b32 s43, vcc_lo
	s_cbranch_execz .LBB13_13
; %bb.15:                               ;   in Loop: Header=BB13_14 Depth=1
	v_dual_mov_b32 v6, v2 :: v_dual_mov_b32 v5, v1
	v_mov_b32_e32 v8, v0
	s_mov_b32 s44, 0
	s_set_inst_prefetch_distance 0x1
	s_branch .LBB13_17
	.p2align	6
.LBB13_16:                              ;   in Loop: Header=BB13_17 Depth=2
	s_or_b32 exec_lo, exec_lo, s2
	v_add_nc_u32_e32 v8, 0x100, v8
	v_add_co_u32 v5, s2, v5, s4
	s_delay_alu instid0(VALU_DEP_1) | instskip(NEXT) | instid1(VALU_DEP_3)
	v_add_co_ci_u32_e64 v6, s2, s5, v6, s2
	v_cmp_le_i32_e64 s1, s39, v8
	s_waitcnt vmcnt(48) lgkmcnt(7)
	s_delay_alu instid0(VALU_DEP_1) | instskip(NEXT) | instid1(SALU_CYCLE_1)
	s_or_b32 s44, s1, s44
	s_and_not1_b32 exec_lo, exec_lo, s44
	s_cbranch_execz .LBB13_13
.LBB13_17:                              ;   Parent Loop BB13_14 Depth=1
                                        ; =>  This Inner Loop Header: Depth=2
	s_delay_alu instid0(VALU_DEP_1) | instskip(SKIP_1) | instid1(VALU_DEP_1)
	v_add_nc_u32_e32 v3, v8, v6
	s_mov_b32 s2, exec_lo
	v_lshrrev_b32_e32 v9, s30, v3
	s_delay_alu instid0(VALU_DEP_1) | instskip(NEXT) | instid1(VALU_DEP_1)
	v_add_nc_u32_e32 v3, s42, v9
	v_cmpx_gt_i32_e64 s8, v3
	s_cbranch_execz .LBB13_16
; %bb.18:                               ;   in Loop: Header=BB13_17 Depth=2
	v_add_nc_u32_e32 v3, s3, v8
	v_mul_lo_u32 v9, v9, s37
	s_delay_alu instid0(VALU_DEP_2) | instskip(NEXT) | instid1(VALU_DEP_2)
	v_lshlrev_b64 v[10:11], 2, v[3:4]
	v_lshlrev_b32_e32 v9, 2, v9
	s_delay_alu instid0(VALU_DEP_2) | instskip(NEXT) | instid1(VALU_DEP_1)
	v_add_co_u32 v10, s1, s12, v10
	v_add_co_ci_u32_e64 v11, s1, s13, v11, s1
	global_load_b32 v3, v[10:11], off
	s_waitcnt vmcnt(0)
	v_lshlrev_b32_e32 v3, 2, v3
	s_delay_alu instid0(VALU_DEP_1)
	v_add3_u32 v3, s38, v3, v9
	ds_load_b32 v9, v3
	s_waitcnt lgkmcnt(0)
	v_add_nc_u32_e32 v9, 1, v9
	ds_store_b32 v3, v9
	s_branch .LBB13_16
.LBB13_19:
	s_mov_b32 s1, exec_lo
	v_cmpx_eq_u32_e32 0, v0
	s_cbranch_execz .LBB13_21
; %bb.20:
	v_mov_b32_e32 v1, 0
	ds_store_b32 v1, v1
.LBB13_21:
	s_or_b32 exec_lo, exec_lo, s1
	v_and_b32_e32 v9, 7, v0
	v_lshrrev_b32_e32 v10, 3, v0
	v_mbcnt_lo_u32_b32 v12, -1, 0
	s_mov_b32 s4, 0
	s_delay_alu instid0(VALU_DEP_3) | instskip(NEXT) | instid1(VALU_DEP_3)
	v_mul_lo_u32 v1, s37, v9
	v_cmp_gt_i32_e64 s1, s9, v10
	v_lshlrev_b32_e32 v11, 2, v10
	s_delay_alu instid0(VALU_DEP_3) | instskip(NEXT) | instid1(VALU_DEP_3)
	v_lshlrev_b32_e32 v8, 2, v1
	s_and_saveexec_b32 s3, s1
	s_cbranch_execz .LBB13_29
; %bb.22:
	s_cmp_gt_i32 s24, 2
	v_lshlrev_b32_e32 v3, 2, v12
	s_cselect_b32 s5, -1, 0
	s_lshl_b32 s2, s9, 3
	v_mov_b32_e32 v5, v10
	v_add3_u32 v4, v8, s2, v11
	v_cmp_eq_u32_e64 s2, 0, v9
	v_xor_b32_e32 v1, 4, v3
	v_xor_b32_e32 v2, 8, v3
	;; [unrolled: 1-line block ×3, first 2 shown]
	v_add3_u32 v4, v4, 0, 8
	s_lshl_b32 s42, s9, 8
	s_lshl_b32 s24, s9, 5
	s_addk_i32 s42, 0x100
	s_add_i32 s43, s24, 32
	s_branch .LBB13_24
.LBB13_23:                              ;   in Loop: Header=BB13_24 Depth=1
	s_or_b32 exec_lo, exec_lo, s44
	v_add_nc_u32_e32 v5, 32, v5
	v_add_nc_u32_e32 v4, 0x80, v4
	s_delay_alu instid0(VALU_DEP_2) | instskip(SKIP_1) | instid1(SALU_CYCLE_1)
	v_cmp_le_i32_e32 vcc_lo, s9, v5
	s_or_b32 s4, vcc_lo, s4
	s_and_not1_b32 exec_lo, exec_lo, s4
	s_cbranch_execz .LBB13_29
.LBB13_24:                              ; =>This Loop Header: Depth=1
                                        ;     Child Loop BB13_26 Depth 2
	v_mov_b32_e32 v6, 0
	s_and_not1_b32 vcc_lo, exec_lo, s5
	s_cbranch_vccnz .LBB13_27
; %bb.25:                               ;   in Loop: Header=BB13_24 Depth=1
	v_dual_mov_b32 v6, 0 :: v_dual_mov_b32 v13, v4
	s_mov_b32 s44, 0
.LBB13_26:                              ;   Parent Loop BB13_24 Depth=1
                                        ; =>  This Inner Loop Header: Depth=2
	s_delay_alu instid0(VALU_DEP_1) | instskip(SKIP_2) | instid1(SALU_CYCLE_1)
	v_add_nc_u32_e32 v14, s24, v13
	ds_load_b32 v15, v13
	s_add_i32 s44, s44, 64
	s_cmp_lt_i32 s44, s33
	v_add_nc_u32_e32 v16, s43, v14
	ds_load_b32 v14, v14 offset:32
	v_add_nc_u32_e32 v17, s43, v16
	ds_load_b32 v16, v16 offset:32
	;; [unrolled: 2-line block ×3, first 2 shown]
	v_add_nc_u32_e32 v13, s42, v13
	v_add_nc_u32_e32 v19, s43, v18
	s_waitcnt lgkmcnt(3)
	ds_bpermute_b32 v20, v1, v15
	ds_load_b32 v18, v18 offset:32
	ds_load_b32 v21, v19 offset:32
	v_add_nc_u32_e32 v19, s43, v19
	s_waitcnt lgkmcnt(5)
	ds_bpermute_b32 v22, v1, v14
	ds_load_b32 v24, v19 offset:32
	s_waitcnt lgkmcnt(6)
	ds_bpermute_b32 v23, v1, v16
	v_add_nc_u32_e32 v19, s43, v19
	s_waitcnt lgkmcnt(6)
	ds_bpermute_b32 v25, v1, v17
	ds_load_b32 v19, v19 offset:32
	s_waitcnt lgkmcnt(7)
	v_add_nc_u32_e32 v15, v20, v15
	s_waitcnt lgkmcnt(6)
	ds_bpermute_b32 v20, v1, v18
	ds_bpermute_b32 v26, v2, v15
	s_waitcnt lgkmcnt(6)
	v_add_nc_u32_e32 v14, v22, v14
	ds_bpermute_b32 v22, v1, v21
	s_waitcnt lgkmcnt(6)
	ds_bpermute_b32 v27, v1, v24
	s_waitcnt lgkmcnt(6)
	v_add_nc_u32_e32 v16, v23, v16
	ds_bpermute_b32 v23, v2, v14
	ds_bpermute_b32 v28, v2, v16
	s_waitcnt lgkmcnt(7)
	v_add_nc_u32_e32 v17, v25, v17
	s_waitcnt lgkmcnt(6)
	ds_bpermute_b32 v25, v1, v19
	ds_bpermute_b32 v29, v2, v17
	s_waitcnt lgkmcnt(7)
	v_add_nc_u32_e32 v18, v20, v18
	s_waitcnt lgkmcnt(6)
	v_add_nc_u32_e32 v15, v26, v15
	s_waitcnt lgkmcnt(5)
	v_add_nc_u32_e32 v21, v22, v21
	ds_bpermute_b32 v20, v2, v18
	ds_bpermute_b32 v22, v3, v15
	s_waitcnt lgkmcnt(5)
	v_add_nc_u32_e32 v14, v23, v14
	v_add_nc_u32_e32 v23, v27, v24
	ds_bpermute_b32 v24, v2, v21
	s_waitcnt lgkmcnt(5)
	v_add_nc_u32_e32 v16, v28, v16
	ds_bpermute_b32 v26, v3, v14
	ds_bpermute_b32 v27, v2, v23
	s_waitcnt lgkmcnt(6)
	v_add_nc_u32_e32 v19, v25, v19
	ds_bpermute_b32 v25, v3, v16
	s_waitcnt lgkmcnt(6)
	v_add_nc_u32_e32 v17, v29, v17
	ds_bpermute_b32 v28, v2, v19
	ds_bpermute_b32 v29, v3, v17
	s_waitcnt lgkmcnt(7)
	v_add_nc_u32_e32 v18, v20, v18
	s_waitcnt lgkmcnt(6)
	v_add3_u32 v6, v15, v6, v22
	s_waitcnt lgkmcnt(5)
	v_add_nc_u32_e32 v20, v24, v21
	ds_bpermute_b32 v15, v3, v18
	s_waitcnt lgkmcnt(5)
	v_add3_u32 v6, v6, v14, v26
	s_waitcnt lgkmcnt(4)
	v_add_nc_u32_e32 v14, v27, v23
	ds_bpermute_b32 v21, v3, v20
	s_waitcnt lgkmcnt(4)
	v_add3_u32 v6, v6, v16, v25
	ds_bpermute_b32 v16, v3, v14
	s_waitcnt lgkmcnt(4)
	v_add_nc_u32_e32 v19, v28, v19
	s_waitcnt lgkmcnt(3)
	v_add3_u32 v6, v6, v17, v29
	ds_bpermute_b32 v17, v3, v19
	s_waitcnt lgkmcnt(3)
	v_add3_u32 v6, v6, v18, v15
	s_waitcnt lgkmcnt(2)
	s_delay_alu instid0(VALU_DEP_1) | instskip(SKIP_1) | instid1(VALU_DEP_1)
	v_add3_u32 v6, v6, v20, v21
	s_waitcnt lgkmcnt(1)
	v_add3_u32 v6, v6, v14, v16
	s_waitcnt lgkmcnt(0)
	s_delay_alu instid0(VALU_DEP_1)
	v_add3_u32 v6, v6, v19, v17
	s_cbranch_scc1 .LBB13_26
.LBB13_27:                              ;   in Loop: Header=BB13_24 Depth=1
	s_and_saveexec_b32 s44, s2
	s_cbranch_execz .LBB13_23
; %bb.28:                               ;   in Loop: Header=BB13_24 Depth=1
	v_lshl_add_u32 v13, v5, 2, 0
	ds_store_b32 v13, v6 offset:4
	s_branch .LBB13_23
.LBB13_29:
	s_or_b32 exec_lo, exec_lo, s3
	s_lshl_b32 s5, s9, 2
	v_cmp_gt_i32_e64 s2, s9, v0
	s_add_i32 s42, s5, 0
	s_delay_alu instid0(SALU_CYCLE_1)
	v_dual_mov_b32 v1, 0 :: v_dual_mov_b32 v2, s42
	s_mov_b32 s4, 0
	ds_store_b32 v2, v1 offset:4
	s_and_saveexec_b32 s24, s2
	s_cbranch_execz .LBB13_32
; %bb.30:
	v_add_co_u32 v1, s3, s10, v7
	v_add3_u32 v3, s42, v7, 8
	v_add_co_ci_u32_e64 v2, null, s11, 0, s3
	v_mov_b32_e32 v4, v0
	.p2align	6
.LBB13_31:                              ; =>This Inner Loop Header: Depth=1
	global_load_b32 v5, v[1:2], off
	v_add_nc_u32_e32 v4, 0x100, v4
	v_add_co_u32 v1, vcc_lo, 0x400, v1
	v_add_co_ci_u32_e32 v2, vcc_lo, 0, v2, vcc_lo
	s_delay_alu instid0(VALU_DEP_3) | instskip(NEXT) | instid1(VALU_DEP_1)
	v_cmp_le_i32_e64 s3, s9, v4
	s_or_b32 s4, s3, s4
	s_waitcnt vmcnt(0)
	ds_store_b32 v3, v5
	v_add_nc_u32_e32 v3, 0x400, v3
	s_and_not1_b32 exec_lo, exec_lo, s4
	s_cbranch_execnz .LBB13_31
.LBB13_32:
	s_or_b32 exec_lo, exec_lo, s24
	s_add_i32 s24, s42, 4
	s_cmp_lg_u32 s41, 0
	s_mov_b32 s41, 0
	s_waitcnt lgkmcnt(0)
	s_barrier
	buffer_gl0_inv
	s_cbranch_scc1 .LBB13_43
; %bb.33:
	v_mov_b32_e32 v1, 0
	s_cmp_lt_i32 s9, 1
	s_cbranch_scc1 .LBB13_40
; %bb.34:
	v_lshlrev_b32_e32 v1, 2, v12
	v_cmp_eq_u32_e32 vcc_lo, 0, v12
	v_cmp_lt_u32_e64 s3, 15, v12
	s_add_i32 s43, s25, -1
	s_delay_alu instid0(VALU_DEP_3) | instskip(SKIP_1) | instid1(VALU_DEP_2)
	v_and_b32_e32 v2, 64, v1
	v_add_nc_u32_e32 v3, 0, v1
	v_add_nc_u32_e32 v2, -4, v2
	s_branch .LBB13_36
.LBB13_35:                              ;   in Loop: Header=BB13_36 Depth=1
	s_or_b32 exec_lo, exec_lo, s44
	v_add_nc_u32_e32 v3, 0x80, v3
	s_add_i32 s41, s41, 32
	s_waitcnt vmcnt(48) lgkmcnt(7)
	s_cmp_lt_i32 s41, s9
	s_cbranch_scc0 .LBB13_40
.LBB13_36:                              ; =>This Inner Loop Header: Depth=1
	ds_load_b32 v1, v3 offset:4
	v_add_nc_u32_e32 v4, s5, v3
	s_waitcnt lgkmcnt(1)
	v_cndmask_b32_e64 v6, 0, s41, vcc_lo
	ds_load_b32 v5, v4 offset:8
	v_lshlrev_b32_e32 v6, 2, v6
	s_delay_alu instid0(VALU_DEP_1) | instskip(SKIP_4) | instid1(VALU_DEP_1)
	v_add_nc_u32_e32 v14, 0, v6
	v_add_nc_u32_e32 v6, s24, v6
	ds_load_b32 v6, v6
	s_waitcnt lgkmcnt(2)
	v_add_nc_u32_e32 v1, s43, v1
	v_mul_hi_u32 v13, v1, s26
	s_waitcnt lgkmcnt(1)
	v_cmp_ne_u32_e64 s4, 0, v5
	s_delay_alu instid0(VALU_DEP_2) | instskip(SKIP_3) | instid1(VALU_DEP_1)
	v_add_nc_u32_e32 v1, v1, v13
	ds_load_b32 v13, v14
	v_add_nc_u32_e32 v14, s41, v12
	v_lshrrev_b32_e32 v1, s27, v1
	v_mul_lo_u32 v1, v1, s25
	s_delay_alu instid0(VALU_DEP_1) | instskip(NEXT) | instid1(VALU_DEP_4)
	v_cndmask_b32_e64 v1, 0, v1, s4
	v_cmp_gt_i32_e64 s4, s9, v14
	s_waitcnt lgkmcnt(0)
	s_delay_alu instid0(VALU_DEP_2) | instskip(NEXT) | instid1(VALU_DEP_1)
	v_add_nc_u32_e32 v1, v1, v13
	v_add_nc_u32_dpp v1, v1, v1 row_shr:1 row_mask:0xf bank_mask:0xf bound_ctrl:1
	s_delay_alu instid0(VALU_DEP_1) | instskip(NEXT) | instid1(VALU_DEP_1)
	v_add_nc_u32_dpp v1, v1, v1 row_shr:2 row_mask:0xf bank_mask:0xf bound_ctrl:1
	v_add_nc_u32_dpp v1, v1, v1 row_shr:4 row_mask:0xf bank_mask:0xf bound_ctrl:1
	s_delay_alu instid0(VALU_DEP_1) | instskip(SKIP_3) | instid1(VALU_DEP_1)
	v_add_nc_u32_dpp v1, v1, v1 row_shr:8 row_mask:0xf bank_mask:0xf bound_ctrl:1
	ds_bpermute_b32 v13, v2, v1
	s_waitcnt lgkmcnt(0)
	v_cndmask_b32_e64 v13, 0, v13, s3
	v_add_nc_u32_e32 v1, v1, v13
	s_and_saveexec_b32 s44, s4
	s_cbranch_execz .LBB13_38
; %bb.37:                               ;   in Loop: Header=BB13_36 Depth=1
	ds_store_b32 v3, v1 offset:4
.LBB13_38:                              ;   in Loop: Header=BB13_36 Depth=1
	s_or_b32 exec_lo, exec_lo, s44
	v_add_nc_u32_e32 v5, v5, v6
	s_delay_alu instid0(VALU_DEP_1) | instskip(NEXT) | instid1(VALU_DEP_1)
	v_add_nc_u32_dpp v5, v5, v5 row_shr:1 row_mask:0xf bank_mask:0xf bound_ctrl:1
	v_add_nc_u32_dpp v5, v5, v5 row_shr:2 row_mask:0xf bank_mask:0xf bound_ctrl:1
	s_delay_alu instid0(VALU_DEP_1) | instskip(NEXT) | instid1(VALU_DEP_1)
	v_add_nc_u32_dpp v5, v5, v5 row_shr:4 row_mask:0xf bank_mask:0xf bound_ctrl:1
	v_add_nc_u32_dpp v5, v5, v5 row_shr:8 row_mask:0xf bank_mask:0xf bound_ctrl:1
	ds_bpermute_b32 v6, v2, v5
	s_and_saveexec_b32 s44, s4
	s_cbranch_execz .LBB13_35
; %bb.39:                               ;   in Loop: Header=BB13_36 Depth=1
	s_waitcnt lgkmcnt(0)
	v_cndmask_b32_e64 v6, 0, v6, s3
	s_delay_alu instid0(VALU_DEP_1)
	v_add_nc_u32_e32 v5, v6, v5
	ds_store_b32 v4, v5 offset:8
	s_branch .LBB13_35
.LBB13_40:
	v_add3_u32 v2, v12, s41, 0xffffffe1
	s_mov_b32 s3, exec_lo
	s_delay_alu instid0(VALU_DEP_1)
	v_cmpx_eq_u32_e64 s9, v2
	s_cbranch_execz .LBB13_42
; %bb.41:
	v_dual_mov_b32 v3, 0 :: v_dual_mov_b32 v2, s8
	global_store_b64 v3, v[1:2], s[22:23]
.LBB13_42:
	s_or_b32 exec_lo, exec_lo, s3
.LBB13_43:
	s_cmp_eq_u64 s[6:7], 0
	s_waitcnt lgkmcnt(0)
	s_waitcnt_vscnt null, 0x0
	s_barrier
	buffer_gl0_inv
	s_cbranch_scc1 .LBB13_50
; %bb.44:
	s_mul_i32 s4, s28, s8
	s_mov_b32 s22, exec_lo
	v_cmpx_gt_i32_e64 s4, v0
	s_cbranch_execz .LBB13_49
; %bb.45:
	v_add_co_u32 v1, s3, s12, v7
	s_delay_alu instid0(VALU_DEP_1) | instskip(SKIP_1) | instid1(VALU_DEP_1)
	v_add_co_ci_u32_e64 v2, null, s13, 0, s3
	v_add_co_u32 v3, s3, s6, v7
	v_add_co_ci_u32_e64 v4, null, s7, 0, s3
	v_mov_b32_e32 v13, v0
	s_mov_b32 s6, 0
	s_set_inst_prefetch_distance 0x1
	s_branch .LBB13_47
	.p2align	6
.LBB13_46:                              ;   in Loop: Header=BB13_47 Depth=1
	s_or_b32 exec_lo, exec_lo, s3
	v_add_nc_u32_e32 v13, 0x100, v13
	v_add_co_u32 v1, vcc_lo, 0x400, v1
	v_add_co_ci_u32_e32 v2, vcc_lo, 0, v2, vcc_lo
	s_waitcnt lgkmcnt(0)
	global_store_b32 v[3:4], v6, off
	v_cmp_le_i32_e32 vcc_lo, s4, v13
	v_add_co_u32 v3, s3, 0x400, v3
	s_delay_alu instid0(VALU_DEP_1) | instskip(SKIP_1) | instid1(SALU_CYCLE_1)
	v_add_co_ci_u32_e64 v4, s3, 0, v4, s3
	s_or_b32 s6, vcc_lo, s6
	s_and_not1_b32 exec_lo, exec_lo, s6
	s_cbranch_execz .LBB13_49
.LBB13_47:                              ; =>This Inner Loop Header: Depth=1
	global_load_b32 v5, v[1:2], off
	s_waitcnt vmcnt(0)
	v_ashrrev_i32_e32 v6, 31, v5
	s_delay_alu instid0(VALU_DEP_1) | instskip(NEXT) | instid1(VALU_DEP_1)
	v_lshlrev_b64 v[14:15], 2, v[5:6]
	v_add_co_u32 v14, vcc_lo, s10, v14
	s_delay_alu instid0(VALU_DEP_2)
	v_add_co_ci_u32_e32 v15, vcc_lo, s11, v15, vcc_lo
	global_load_b32 v6, v[14:15], off
	s_waitcnt vmcnt(0)
	v_cmp_ne_u32_e32 vcc_lo, 0, v6
	v_mov_b32_e32 v6, -1
	s_and_saveexec_b32 s3, vcc_lo
	s_cbranch_execz .LBB13_46
; %bb.48:                               ;   in Loop: Header=BB13_47 Depth=1
	v_lshl_add_u32 v5, v5, 2, s24
	ds_load_b32 v6, v5
	s_branch .LBB13_46
.LBB13_49:
	s_set_inst_prefetch_distance 0x2
	s_or_b32 exec_lo, exec_lo, s22
	s_waitcnt_vscnt null, 0x0
	s_barrier
	buffer_gl0_inv
.LBB13_50:
	s_and_saveexec_b32 s4, s2
	s_cbranch_execz .LBB13_57
; %bb.51:
	v_dual_mov_b32 v2, 0 :: v_dual_mov_b32 v3, v0
	s_mov_b32 s6, 0
	s_branch .LBB13_53
.LBB13_52:                              ;   in Loop: Header=BB13_53 Depth=1
	s_or_b32 exec_lo, exec_lo, s7
	v_add_nc_u32_e32 v3, 0x100, v3
	s_delay_alu instid0(VALU_DEP_1) | instskip(SKIP_1) | instid1(SALU_CYCLE_1)
	v_cmp_le_i32_e32 vcc_lo, s9, v3
	s_or_b32 s6, vcc_lo, s6
	s_and_not1_b32 exec_lo, exec_lo, s6
	s_cbranch_execz .LBB13_57
.LBB13_53:                              ; =>This Loop Header: Depth=1
                                        ;     Child Loop BB13_56 Depth 2
	s_delay_alu instid0(VALU_DEP_1) | instskip(SKIP_1) | instid1(VALU_DEP_1)
	v_lshlrev_b32_e32 v1, 2, v3
	s_mov_b32 s7, exec_lo
	v_add_nc_u32_e32 v4, 0, v1
	v_add_nc_u32_e32 v1, s24, v1
	ds_load_2addr_b32 v[5:6], v4 offset1:1
	s_waitcnt lgkmcnt(2)
	ds_load_b32 v13, v1
	s_waitcnt lgkmcnt(1)
	ds_store_b32 v1, v5
	v_cmpx_ne_u32_e64 v5, v6
	s_cbranch_execz .LBB13_52
; %bb.54:                               ;   in Loop: Header=BB13_53 Depth=1
	v_mov_b32_e32 v4, v2
	v_cmp_lt_i32_e64 s3, v5, v6
	s_delay_alu instid0(VALU_DEP_2) | instskip(NEXT) | instid1(VALU_DEP_1)
	v_lshlrev_b64 v[14:15], 2, v[3:4]
	v_add_co_u32 v14, vcc_lo, s10, v14
	s_delay_alu instid0(VALU_DEP_2) | instskip(SKIP_4) | instid1(SALU_CYCLE_1)
	v_add_co_ci_u32_e32 v15, vcc_lo, s11, v15, vcc_lo
	global_load_b32 v1, v[14:15], off
	s_waitcnt vmcnt(0)
	v_cmp_ne_u32_e32 vcc_lo, 0, v1
	s_and_b32 s3, s3, vcc_lo
	s_and_b32 exec_lo, exec_lo, s3
	s_cbranch_execz .LBB13_52
; %bb.55:                               ;   in Loop: Header=BB13_53 Depth=1
	s_mov_b32 s22, 0
	.p2align	6
.LBB13_56:                              ;   Parent Loop BB13_53 Depth=1
                                        ; =>  This Inner Loop Header: Depth=2
	v_mul_hi_u32 v1, s26, v5
	s_delay_alu instid0(VALU_DEP_1) | instskip(SKIP_1) | instid1(VALU_DEP_2)
	v_add_nc_u32_e32 v1, v5, v1
	v_add_nc_u32_e32 v5, s25, v5
	v_lshrrev_b32_e32 v1, s27, v1
	s_delay_alu instid0(VALU_DEP_2) | instskip(NEXT) | instid1(VALU_DEP_2)
	v_cmp_ge_i32_e32 vcc_lo, v5, v6
	v_lshlrev_b64 v[14:15], 2, v[1:2]
	s_or_b32 s22, vcc_lo, s22
	s_delay_alu instid0(VALU_DEP_1) | instskip(NEXT) | instid1(VALU_DEP_1)
	v_add_co_u32 v14, s3, s20, v14
	v_add_co_ci_u32_e64 v15, s3, s21, v15, s3
	s_waitcnt lgkmcnt(1)
	global_store_b32 v[14:15], v13, off
	s_and_not1_b32 exec_lo, exec_lo, s22
	s_cbranch_execnz .LBB13_56
	s_branch .LBB13_52
.LBB13_57:
	s_or_b32 exec_lo, exec_lo, s4
	s_add_i32 s3, s42, s5
	s_delay_alu instid0(SALU_CYCLE_1)
	v_dual_mov_b32 v1, s42 :: v_dual_mov_b32 v2, s3
	s_waitcnt lgkmcnt(0)
	s_waitcnt_vscnt null, 0x0
	s_barrier
	buffer_gl0_inv
	ds_load_b32 v1, v1
	s_and_not1_b32 vcc_lo, exec_lo, s40
	s_waitcnt lgkmcnt(0)
	ds_store_b32 v2, v1 offset:4
	s_cbranch_vccnz .LBB13_79
; %bb.58:
	s_sub_i32 s5, s37, s31
	s_add_u32 s22, s16, -4
	s_addc_u32 s23, s17, -1
	s_add_u32 s25, s14, -4
	s_addc_u32 s26, s15, -1
	v_dual_mov_b32 v6, 0 :: v_dual_and_b32 v1, 8, v12
	s_add_u32 s27, s18, -4
	s_addc_u32 s31, s19, -1
	s_lshl_b32 s41, s9, 3
	s_delay_alu instid0(VALU_DEP_1)
	v_cmp_eq_u32_e64 s4, 0, v1
	v_add3_u32 v5, v8, s41, v11
	v_mad_u64_u32 v[1:2], null, v0, s34, 0
	v_mad_u64_u32 v[3:4], null, v0, s29, 0
	v_mul_lo_u32 v11, s28, v9
	s_add_i32 s14, s41, 0
	s_mov_b32 s7, 0
	v_cmp_gt_i32_e32 vcc_lo, s39, v0
	v_cmp_gt_i32_e64 s3, s33, v9
	v_or_b32_e32 v12, 28, v7
	v_add3_u32 v13, s14, v7, 8
	v_add3_u32 v14, v5, 0, 8
	s_mov_b32 s6, s34
	s_mov_b32 s20, s29
	;; [unrolled: 1-line block ×3, first 2 shown]
	s_lshl_b32 s41, s9, 5
	s_lshl_b32 s40, s5, 2
	s_lshl_b64 s[14:15], s[6:7], 8
	s_sub_i32 s34, 0, s28
	s_lshl_b64 s[20:21], s[20:21], 8
	s_lshl_b32 s29, s28, 3
	s_add_i32 s41, s41, 32
	s_mov_b32 s42, s7
	s_branch .LBB13_60
.LBB13_59:                              ;   in Loop: Header=BB13_60 Depth=1
	s_or_b32 exec_lo, exec_lo, s43
	v_add_nc_u32_e32 v11, s39, v11
	s_add_i32 s42, s42, s33
	s_add_i32 s7, s7, s39
	s_cmp_ge_i32 s42, s8
	s_waitcnt lgkmcnt(0)
	s_waitcnt_vscnt null, 0x0
	s_barrier
	buffer_gl0_inv
	s_cbranch_scc1 .LBB13_79
.LBB13_60:                              ; =>This Loop Header: Depth=1
                                        ;     Child Loop BB13_62 Depth 2
                                        ;     Child Loop BB13_66 Depth 2
	;; [unrolled: 1-line block ×3, first 2 shown]
                                        ;       Child Loop BB13_77 Depth 3
	s_and_saveexec_b32 s43, s0
	s_cbranch_execz .LBB13_63
; %bb.61:                               ;   in Loop: Header=BB13_60 Depth=1
	v_dual_mov_b32 v8, v2 :: v_dual_mov_b32 v7, v1
	v_mov_b32_e32 v5, v13
	v_mov_b32_e32 v15, v0
	s_mov_b32 s44, 0
	.p2align	6
.LBB13_62:                              ;   Parent Loop BB13_60 Depth=1
                                        ; =>  This Inner Loop Header: Depth=2
	s_delay_alu instid0(VALU_DEP_1) | instskip(SKIP_2) | instid1(VALU_DEP_1)
	v_add_nc_u32_e32 v16, v15, v8
	v_add_nc_u32_e32 v15, 0x100, v15
	v_add_co_u32 v7, s5, v7, s14
	v_add_co_ci_u32_e64 v8, s5, s15, v8, s5
	s_delay_alu instid0(VALU_DEP_4) | instskip(NEXT) | instid1(VALU_DEP_4)
	v_lshrrev_b32_e32 v18, s35, v16
	v_cmp_le_i32_e64 s6, s36, v15
	s_delay_alu instid0(VALU_DEP_2) | instskip(SKIP_1) | instid1(VALU_DEP_3)
	v_mad_u64_u32 v[16:17], null, s40, v18, v[5:6]
	v_add_nc_u32_e32 v5, 0x400, v5
	s_or_b32 s44, s6, s44
	ds_store_b32 v16, v6
	s_and_not1_b32 exec_lo, exec_lo, s44
	s_cbranch_execnz .LBB13_62
.LBB13_63:                              ;   in Loop: Header=BB13_60 Depth=1
	s_or_b32 exec_lo, exec_lo, s43
	s_waitcnt lgkmcnt(0)
	s_barrier
	buffer_gl0_inv
	s_and_saveexec_b32 s43, vcc_lo
	s_cbranch_execz .LBB13_68
; %bb.64:                               ;   in Loop: Header=BB13_60 Depth=1
	v_dual_mov_b32 v8, v4 :: v_dual_mov_b32 v7, v3
	v_mov_b32_e32 v5, v0
	s_mov_b32 s44, 0
	s_set_inst_prefetch_distance 0x1
	s_branch .LBB13_66
	.p2align	6
.LBB13_65:                              ;   in Loop: Header=BB13_66 Depth=2
	s_or_b32 exec_lo, exec_lo, s6
	v_add_nc_u32_e32 v5, 0x100, v5
	v_add_co_u32 v7, s6, v7, s20
	s_delay_alu instid0(VALU_DEP_1) | instskip(NEXT) | instid1(VALU_DEP_3)
	v_add_co_ci_u32_e64 v8, s6, s21, v8, s6
	v_cmp_le_i32_e64 s5, s39, v5
	s_delay_alu instid0(VALU_DEP_1) | instskip(NEXT) | instid1(SALU_CYCLE_1)
	s_or_b32 s44, s5, s44
	s_and_not1_b32 exec_lo, exec_lo, s44
	s_cbranch_execz .LBB13_68
.LBB13_66:                              ;   Parent Loop BB13_60 Depth=1
                                        ; =>  This Inner Loop Header: Depth=2
	s_delay_alu instid0(VALU_DEP_1) | instskip(SKIP_1) | instid1(VALU_DEP_1)
	v_add_nc_u32_e32 v15, v5, v8
	s_mov_b32 s6, exec_lo
	v_lshrrev_b32_e32 v15, s30, v15
	s_delay_alu instid0(VALU_DEP_1) | instskip(NEXT) | instid1(VALU_DEP_1)
	v_add_nc_u32_e32 v16, s42, v15
	v_cmpx_gt_i32_e64 s8, v16
	s_cbranch_execz .LBB13_65
; %bb.67:                               ;   in Loop: Header=BB13_66 Depth=2
	v_add_nc_u32_e32 v16, s7, v5
	s_delay_alu instid0(VALU_DEP_1) | instskip(NEXT) | instid1(VALU_DEP_1)
	v_ashrrev_i32_e32 v17, 31, v16
	v_lshlrev_b64 v[16:17], 2, v[16:17]
	s_delay_alu instid0(VALU_DEP_1) | instskip(NEXT) | instid1(VALU_DEP_1)
	v_add_co_u32 v16, s5, s12, v16
	v_add_co_ci_u32_e64 v17, s5, s13, v17, s5
	global_load_b32 v16, v[16:17], off
	v_mul_lo_u32 v17, v15, s37
	v_mul_lo_u32 v15, s34, v15
	s_delay_alu instid0(VALU_DEP_2) | instskip(NEXT) | instid1(VALU_DEP_2)
	v_lshlrev_b32_e32 v17, 2, v17
	v_add3_u32 v15, v5, v15, 1
	s_waitcnt vmcnt(0)
	v_lshlrev_b32_e32 v16, 2, v16
	s_delay_alu instid0(VALU_DEP_1)
	v_add3_u32 v16, s38, v16, v17
	ds_store_b32 v16, v15
	s_branch .LBB13_65
.LBB13_68:                              ;   in Loop: Header=BB13_60 Depth=1
	s_set_inst_prefetch_distance 0x2
	s_or_b32 exec_lo, exec_lo, s43
	s_waitcnt lgkmcnt(0)
	s_barrier
	buffer_gl0_inv
	s_and_saveexec_b32 s43, s1
	s_cbranch_execz .LBB13_59
; %bb.69:                               ;   in Loop: Header=BB13_60 Depth=1
	v_mov_b32_e32 v7, v14
	v_mov_b32_e32 v5, v10
	s_mov_b32 s44, 0
	s_branch .LBB13_73
.LBB13_70:                              ;   in Loop: Header=BB13_73 Depth=2
	s_or_b32 exec_lo, exec_lo, s47
.LBB13_71:                              ;   in Loop: Header=BB13_73 Depth=2
	s_delay_alu instid0(SALU_CYCLE_1)
	s_or_b32 exec_lo, exec_lo, s46
	s_waitcnt lgkmcnt(0)
	ds_store_b32 v8, v15
.LBB13_72:                              ;   in Loop: Header=BB13_73 Depth=2
	s_or_b32 exec_lo, exec_lo, s45
	v_add_nc_u32_e32 v5, 32, v5
	v_add_nc_u32_e32 v7, 0x80, v7
	s_delay_alu instid0(VALU_DEP_2) | instskip(NEXT) | instid1(VALU_DEP_1)
	v_cmp_le_i32_e64 s5, s9, v5
	s_or_b32 s44, s5, s44
	s_delay_alu instid0(SALU_CYCLE_1)
	s_and_not1_b32 exec_lo, exec_lo, s44
	s_cbranch_execz .LBB13_59
.LBB13_73:                              ;   Parent Loop BB13_60 Depth=1
                                        ; =>  This Loop Header: Depth=2
                                        ;       Child Loop BB13_77 Depth 3
	s_delay_alu instid0(VALU_DEP_1) | instskip(SKIP_1) | instid1(VALU_DEP_1)
	v_lshlrev_b64 v[15:16], 2, v[5:6]
	s_mov_b32 s45, exec_lo
	v_add_co_u32 v15, s5, s10, v15
	s_delay_alu instid0(VALU_DEP_1)
	v_add_co_ci_u32_e64 v16, s5, s11, v16, s5
	global_load_b32 v8, v[15:16], off
	s_waitcnt vmcnt(0)
	v_cmpx_ne_u32_e32 0, v8
	s_cbranch_execz .LBB13_72
; %bb.74:                               ;   in Loop: Header=BB13_73 Depth=2
	v_lshl_add_u32 v8, v5, 2, 0
	ds_load_b32 v15, v8
	s_and_saveexec_b32 s46, s3
	s_cbranch_execz .LBB13_71
; %bb.75:                               ;   in Loop: Header=BB13_73 Depth=2
	v_mov_b32_e32 v16, v7
	v_dual_mov_b32 v17, v11 :: v_dual_mov_b32 v18, v9
	s_mov_b32 s47, 0
	s_branch .LBB13_77
.LBB13_76:                              ;   in Loop: Header=BB13_77 Depth=3
	s_or_b32 exec_lo, exec_lo, s6
	ds_bpermute_b32 v19, v12, v19
	v_add_nc_u32_e32 v18, 8, v18
	v_add_nc_u32_e32 v17, s29, v17
	;; [unrolled: 1-line block ×3, first 2 shown]
	s_delay_alu instid0(VALU_DEP_3) | instskip(NEXT) | instid1(VALU_DEP_1)
	v_cmp_le_i32_e64 s5, s33, v18
	s_or_b32 s47, s5, s47
	s_waitcnt lgkmcnt(0)
	v_add_nc_u32_e32 v15, v19, v15
	s_and_not1_b32 exec_lo, exec_lo, s47
	s_cbranch_execz .LBB13_70
.LBB13_77:                              ;   Parent Loop BB13_60 Depth=1
                                        ;     Parent Loop BB13_73 Depth=2
                                        ; =>    This Inner Loop Header: Depth=3
	ds_load_b32 v20, v16
	s_waitcnt lgkmcnt(0)
	v_cmp_ne_u32_e64 s5, 0, v20
	s_delay_alu instid0(VALU_DEP_1) | instskip(NEXT) | instid1(VALU_DEP_1)
	v_cndmask_b32_e64 v19, 0, 1, s5
	v_mov_b32_dpp v19, v19 row_shr:1 row_mask:0xf bank_mask:0xf bound_ctrl:1
	s_delay_alu instid0(VALU_DEP_1) | instskip(NEXT) | instid1(VALU_DEP_1)
	v_add_co_ci_u32_e64 v21, s6, 0, v19, s5
	v_mov_b32_dpp v21, v21 row_shr:2 row_mask:0xf bank_mask:0xf bound_ctrl:1
	s_delay_alu instid0(VALU_DEP_1) | instskip(NEXT) | instid1(VALU_DEP_1)
	v_add_co_ci_u32_e64 v19, s6, v21, v19, s5
	v_add_nc_u32_dpp v19, v19, v19 row_shr:4 row_mask:0xf bank_mask:0xf bound_ctrl:1
	s_delay_alu instid0(VALU_DEP_1) | instskip(NEXT) | instid1(VALU_DEP_1)
	v_add_nc_u32_dpp v19, v19, v19 row_shr:8 row_mask:0xf bank_mask:0xf bound_ctrl:1
	v_mov_b32_dpp v21, v19 row_share:7 row_mask:0xf bank_mask:0xf bound_ctrl:1
	s_delay_alu instid0(VALU_DEP_1) | instskip(NEXT) | instid1(VALU_DEP_1)
	v_cndmask_b32_e64 v21, v21, 0, s4
	v_sub_nc_u32_e32 v19, v19, v21
	s_and_saveexec_b32 s6, s5
	s_cbranch_execz .LBB13_76
; %bb.78:                               ;   in Loop: Header=BB13_77 Depth=3
	v_add_nc_u32_e32 v21, v17, v20
	v_add_nc_u32_e32 v23, s42, v18
	s_delay_alu instid0(VALU_DEP_2) | instskip(NEXT) | instid1(VALU_DEP_2)
	v_ashrrev_i32_e32 v22, 31, v21
	v_perm_b32 v23, v20, v23, 0x4020100
	s_delay_alu instid0(VALU_DEP_2) | instskip(NEXT) | instid1(VALU_DEP_2)
	v_lshlrev_b64 v[21:22], 2, v[21:22]
	v_add_nc_u32_e32 v25, 0xff000000, v23
	s_delay_alu instid0(VALU_DEP_2) | instskip(NEXT) | instid1(VALU_DEP_1)
	v_add_co_u32 v21, s5, s25, v21
	v_add_co_ci_u32_e64 v22, s5, s26, v22, s5
	global_load_b32 v24, v[21:22], off
	v_add_nc_u32_e32 v21, v19, v15
	s_delay_alu instid0(VALU_DEP_1) | instskip(NEXT) | instid1(VALU_DEP_1)
	v_ashrrev_i32_e32 v22, 31, v21
	v_lshlrev_b64 v[20:21], 2, v[21:22]
	s_delay_alu instid0(VALU_DEP_1) | instskip(NEXT) | instid1(VALU_DEP_1)
	v_add_co_u32 v22, s5, s22, v20
	v_add_co_ci_u32_e64 v23, s5, s23, v21, s5
	v_add_co_u32 v20, s5, s27, v20
	s_delay_alu instid0(VALU_DEP_1)
	v_add_co_ci_u32_e64 v21, s5, s31, v21, s5
	global_store_b32 v[22:23], v25, off
	s_waitcnt vmcnt(0)
	global_store_b32 v[20:21], v24, off
	s_branch .LBB13_76
.LBB13_79:
	s_and_saveexec_b32 s0, s2
	s_cbranch_execz .LBB13_85
; %bb.80:
	v_mov_b32_e32 v6, 0
	s_and_b32 s0, s8, 0xffffff
	s_lshl_b32 s1, s28, 24
	s_add_i32 s24, s24, 4
	s_or_b32 s1, s1, s0
	s_mov_b32 s2, 0
	s_set_inst_prefetch_distance 0x1
	s_branch .LBB13_82
	.p2align	6
.LBB13_81:                              ;   in Loop: Header=BB13_82 Depth=1
	s_or_b32 exec_lo, exec_lo, s3
	v_add_nc_u32_e32 v0, 0x100, v0
	s_delay_alu instid0(VALU_DEP_1) | instskip(SKIP_1) | instid1(SALU_CYCLE_1)
	v_cmp_le_i32_e32 vcc_lo, s9, v0
	s_or_b32 s2, vcc_lo, s2
	s_and_not1_b32 exec_lo, exec_lo, s2
	s_cbranch_execz .LBB13_85
.LBB13_82:                              ; =>This Loop Header: Depth=1
                                        ;     Child Loop BB13_84 Depth 2
	v_lshlrev_b32_e32 v1, 2, v0
	s_mov_b32 s3, exec_lo
	s_delay_alu instid0(VALU_DEP_1)
	v_add_nc_u32_e32 v2, 0, v1
	v_add_nc_u32_e32 v3, s24, v1
	ds_load_b32 v1, v2
	ds_load_b32 v7, v3
	s_waitcnt lgkmcnt(0)
	v_cmpx_lt_i32_e64 v1, v7
	s_cbranch_execz .LBB13_81
; %bb.83:                               ;   in Loop: Header=BB13_82 Depth=1
	v_ashrrev_i32_e32 v2, 31, v1
	s_mov_b32 s4, 0
	s_delay_alu instid0(VALU_DEP_1) | instskip(NEXT) | instid1(VALU_DEP_1)
	v_lshlrev_b64 v[4:5], 2, v[1:2]
	v_add_co_u32 v2, vcc_lo, s16, v4
	s_delay_alu instid0(VALU_DEP_2)
	v_add_co_ci_u32_e32 v3, vcc_lo, s17, v5, vcc_lo
	v_add_co_u32 v4, vcc_lo, s18, v4
	v_add_co_ci_u32_e32 v5, vcc_lo, s19, v5, vcc_lo
	.p2align	6
.LBB13_84:                              ;   Parent Loop BB13_82 Depth=1
                                        ; =>  This Inner Loop Header: Depth=2
	v_dual_mov_b32 v8, s1 :: v_dual_add_nc_u32 v1, 1, v1
	global_store_b32 v[4:5], v6, off
	v_add_co_u32 v4, vcc_lo, v4, 4
	v_add_co_ci_u32_e32 v5, vcc_lo, 0, v5, vcc_lo
	global_store_b32 v[2:3], v8, off
	v_cmp_ge_i32_e32 vcc_lo, v1, v7
	v_add_co_u32 v2, s0, v2, 4
	s_delay_alu instid0(VALU_DEP_1) | instskip(SKIP_1) | instid1(SALU_CYCLE_1)
	v_add_co_ci_u32_e64 v3, s0, 0, v3, s0
	s_or_b32 s4, vcc_lo, s4
	s_and_not1_b32 exec_lo, exec_lo, s4
	s_cbranch_execnz .LBB13_84
	s_branch .LBB13_81
.LBB13_85:
	s_set_inst_prefetch_distance 0x2
	s_nop 0
	s_sendmsg sendmsg(MSG_DEALLOC_VGPRS)
	s_endpgm
	.section	.rodata,"a",@progbits
	.p2align	6, 0x0
	.amdhsa_kernel _ZN5aiter22opus_moe_sorting_entryINS_16MoeSortingKernelINS_19MoeSortingProblemExIifLi8ELb0ELb1ELb0ELb1ELi0EEEEENS4_5KargsEEEvT0_
		.amdhsa_group_segment_fixed_size 0
		.amdhsa_private_segment_fixed_size 0
		.amdhsa_kernarg_size 400
		.amdhsa_user_sgpr_count 15
		.amdhsa_user_sgpr_dispatch_ptr 0
		.amdhsa_user_sgpr_queue_ptr 0
		.amdhsa_user_sgpr_kernarg_segment_ptr 1
		.amdhsa_user_sgpr_dispatch_id 0
		.amdhsa_user_sgpr_private_segment_size 0
		.amdhsa_wavefront_size32 1
		.amdhsa_uses_dynamic_stack 0
		.amdhsa_enable_private_segment 0
		.amdhsa_system_sgpr_workgroup_id_x 1
		.amdhsa_system_sgpr_workgroup_id_y 0
		.amdhsa_system_sgpr_workgroup_id_z 0
		.amdhsa_system_sgpr_workgroup_info 0
		.amdhsa_system_vgpr_workitem_id 0
		.amdhsa_next_free_vgpr 30
		.amdhsa_next_free_sgpr 48
		.amdhsa_reserve_vcc 1
		.amdhsa_float_round_mode_32 0
		.amdhsa_float_round_mode_16_64 0
		.amdhsa_float_denorm_mode_32 3
		.amdhsa_float_denorm_mode_16_64 3
		.amdhsa_dx10_clamp 1
		.amdhsa_ieee_mode 1
		.amdhsa_fp16_overflow 0
		.amdhsa_workgroup_processor_mode 1
		.amdhsa_memory_ordered 1
		.amdhsa_forward_progress 0
		.amdhsa_shared_vgpr_count 0
		.amdhsa_exception_fp_ieee_invalid_op 0
		.amdhsa_exception_fp_denorm_src 0
		.amdhsa_exception_fp_ieee_div_zero 0
		.amdhsa_exception_fp_ieee_overflow 0
		.amdhsa_exception_fp_ieee_underflow 0
		.amdhsa_exception_fp_ieee_inexact 0
		.amdhsa_exception_int_div_zero 0
	.end_amdhsa_kernel
	.section	.text._ZN5aiter22opus_moe_sorting_entryINS_16MoeSortingKernelINS_19MoeSortingProblemExIifLi8ELb0ELb1ELb0ELb1ELi0EEEEENS4_5KargsEEEvT0_,"axG",@progbits,_ZN5aiter22opus_moe_sorting_entryINS_16MoeSortingKernelINS_19MoeSortingProblemExIifLi8ELb0ELb1ELb0ELb1ELi0EEEEENS4_5KargsEEEvT0_,comdat
.Lfunc_end13:
	.size	_ZN5aiter22opus_moe_sorting_entryINS_16MoeSortingKernelINS_19MoeSortingProblemExIifLi8ELb0ELb1ELb0ELb1ELi0EEEEENS4_5KargsEEEvT0_, .Lfunc_end13-_ZN5aiter22opus_moe_sorting_entryINS_16MoeSortingKernelINS_19MoeSortingProblemExIifLi8ELb0ELb1ELb0ELb1ELi0EEEEENS4_5KargsEEEvT0_
                                        ; -- End function
	.section	.AMDGPU.csdata,"",@progbits
; Kernel info:
; codeLenInByte = 4392
; NumSgprs: 50
; NumVgprs: 30
; ScratchSize: 0
; MemoryBound: 0
; FloatMode: 240
; IeeeMode: 1
; LDSByteSize: 0 bytes/workgroup (compile time only)
; SGPRBlocks: 6
; VGPRBlocks: 3
; NumSGPRsForWavesPerEU: 50
; NumVGPRsForWavesPerEU: 30
; Occupancy: 16
; WaveLimiterHint : 1
; COMPUTE_PGM_RSRC2:SCRATCH_EN: 0
; COMPUTE_PGM_RSRC2:USER_SGPR: 15
; COMPUTE_PGM_RSRC2:TRAP_HANDLER: 0
; COMPUTE_PGM_RSRC2:TGID_X_EN: 1
; COMPUTE_PGM_RSRC2:TGID_Y_EN: 0
; COMPUTE_PGM_RSRC2:TGID_Z_EN: 0
; COMPUTE_PGM_RSRC2:TIDIG_COMP_CNT: 0
	.section	.text._ZN5aiter22opus_moe_sorting_entryINS_16MoeSortingKernelINS_19MoeSortingProblemExIifLi4ELb0ELb1ELb0ELb1ELi0EEEEENS4_5KargsEEEvT0_,"axG",@progbits,_ZN5aiter22opus_moe_sorting_entryINS_16MoeSortingKernelINS_19MoeSortingProblemExIifLi4ELb0ELb1ELb0ELb1ELi0EEEEENS4_5KargsEEEvT0_,comdat
	.protected	_ZN5aiter22opus_moe_sorting_entryINS_16MoeSortingKernelINS_19MoeSortingProblemExIifLi4ELb0ELb1ELb0ELb1ELi0EEEEENS4_5KargsEEEvT0_ ; -- Begin function _ZN5aiter22opus_moe_sorting_entryINS_16MoeSortingKernelINS_19MoeSortingProblemExIifLi4ELb0ELb1ELb0ELb1ELi0EEEEENS4_5KargsEEEvT0_
	.globl	_ZN5aiter22opus_moe_sorting_entryINS_16MoeSortingKernelINS_19MoeSortingProblemExIifLi4ELb0ELb1ELb0ELb1ELi0EEEEENS4_5KargsEEEvT0_
	.p2align	8
	.type	_ZN5aiter22opus_moe_sorting_entryINS_16MoeSortingKernelINS_19MoeSortingProblemExIifLi4ELb0ELb1ELb0ELb1ELi0EEEEENS4_5KargsEEEvT0_,@function
_ZN5aiter22opus_moe_sorting_entryINS_16MoeSortingKernelINS_19MoeSortingProblemExIifLi4ELb0ELb1ELb0ELb1ELi0EEEEENS4_5KargsEEEvT0_: ; @_ZN5aiter22opus_moe_sorting_entryINS_16MoeSortingKernelINS_19MoeSortingProblemExIifLi4ELb0ELb1ELb0ELb1ELi0EEEEENS4_5KargsEEEvT0_
; %bb.0:
	s_clause 0x1
	s_load_b256 s[16:23], s[0:1], 0x20
	s_load_b256 s[4:11], s[0:1], 0x40
	s_cmp_eq_u32 s15, 0
	s_cbranch_scc1 .LBB14_7
; %bb.1:
	s_waitcnt lgkmcnt(0)
	s_cmp_eq_u64 s[4:5], 0
	s_cbranch_scc1 .LBB14_6
; %bb.2:
	s_mul_i32 s2, s10, s8
	s_ashr_i32 s3, s11, 31
	s_mul_hi_u32 s12, s2, s11
	s_mul_i32 s3, s2, s3
	s_mul_hi_i32 s10, s10, s8
	s_add_i32 s3, s12, s3
	s_mul_i32 s10, s10, s11
	s_mul_i32 s2, s2, s11
	s_add_i32 s3, s3, s10
	v_mov_b32_e32 v2, 0
	s_ashr_i32 s10, s3, 31
	s_mov_b32 s13, 0
	s_lshr_b32 s10, s10, 28
	s_delay_alu instid0(SALU_CYCLE_1) | instskip(SKIP_2) | instid1(SALU_CYCLE_1)
	s_add_u32 s2, s2, s10
	s_addc_u32 s3, s3, 0
	s_lshl_b32 s10, s15, 8
	v_add3_u32 v1, v0, s10, 0xffffff00
	s_ashr_i64 s[10:11], s[2:3], 4
	s_mov_b32 s3, exec_lo
	s_delay_alu instid0(VALU_DEP_1)
	v_cmpx_gt_i64_e64 s[10:11], v[1:2]
	s_cbranch_execz .LBB14_5
; %bb.3:
	s_load_b32 s2, s[0:1], 0x90
	v_lshlrev_b64 v[3:4], 4, v[1:2]
	v_dual_mov_b32 v6, v2 :: v_dual_mov_b32 v5, v1
	v_mov_b32_e32 v1, v2
	s_delay_alu instid0(VALU_DEP_3) | instskip(NEXT) | instid1(VALU_DEP_4)
	v_add_co_u32 v7, vcc_lo, s4, v3
	v_add_co_ci_u32_e32 v8, vcc_lo, s5, v4, vcc_lo
	v_mov_b32_e32 v3, v2
	v_mov_b32_e32 v4, v2
	s_waitcnt lgkmcnt(0)
	s_lshl_b32 s2, s2, 8
	s_delay_alu instid0(SALU_CYCLE_1) | instskip(NEXT) | instid1(SALU_CYCLE_1)
	s_add_i32 s12, s2, 0xffffff00
	s_lshl_b64 s[4:5], s[12:13], 4
.LBB14_4:                               ; =>This Inner Loop Header: Depth=1
	v_add_co_u32 v5, vcc_lo, v5, s12
	v_add_co_ci_u32_e32 v6, vcc_lo, 0, v6, vcc_lo
	global_store_b128 v[7:8], v[1:4], off
	v_add_co_u32 v7, s2, v7, s4
	v_cmp_le_i64_e32 vcc_lo, s[10:11], v[5:6]
	v_add_co_ci_u32_e64 v8, s2, s5, v8, s2
	s_or_b32 s13, vcc_lo, s13
	s_delay_alu instid0(SALU_CYCLE_1)
	s_and_not1_b32 exec_lo, exec_lo, s13
	s_cbranch_execnz .LBB14_4
.LBB14_5:
	s_or_b32 exec_lo, exec_lo, s3
.LBB14_6:
	s_cbranch_execz .LBB14_8
	s_branch .LBB14_85
.LBB14_7:
.LBB14_8:
	s_clause 0x1
	s_load_b256 s[24:31], s[0:1], 0x64
	s_load_b128 s[12:15], s[0:1], 0x0
	s_waitcnt lgkmcnt(0)
	s_clause 0x1
	s_load_b64 s[10:11], s[0:1], 0x10
	s_load_b64 s[34:35], s[0:1], 0x84
	v_lshrrev_b32_e32 v1, 5, v0
	v_lshlrev_b32_e32 v7, 2, v0
	s_add_i32 s37, s9, 1
	s_delay_alu instid0(VALU_DEP_2) | instskip(SKIP_1) | instid1(SALU_CYCLE_1)
	v_readfirstlane_b32 s41, v1
	s_add_i32 s33, s24, -2
	s_mul_i32 s36, s33, s9
	s_delay_alu instid0(SALU_CYCLE_1) | instskip(NEXT) | instid1(VALU_DEP_1)
	v_cmp_gt_i32_e64 s0, s36, v0
	s_and_saveexec_b32 s38, s0
	s_cbranch_execz .LBB14_11
; %bb.9:
	s_lshl_b32 s1, s9, 3
	s_waitcnt lgkmcnt(0)
	v_mad_u64_u32 v[1:2], null, v0, s34, 0
	s_add_i32 s1, s1, 0
	v_dual_mov_b32 v4, 0 :: v_dual_mov_b32 v5, v0
	v_add3_u32 v3, s1, v7, 8
	s_mov_b32 s3, 0
	s_sub_i32 s4, s37, s31
	s_mov_b32 s2, s34
	s_lshl_b32 s39, s4, 2
	s_lshl_b64 s[4:5], s[2:3], 8
	.p2align	6
.LBB14_10:                              ; =>This Inner Loop Header: Depth=1
	v_add_nc_u32_e32 v6, v5, v2
	v_add_nc_u32_e32 v5, 0x100, v5
	v_add_co_u32 v1, vcc_lo, v1, s4
	v_add_co_ci_u32_e32 v2, vcc_lo, s5, v2, vcc_lo
	s_delay_alu instid0(VALU_DEP_4) | instskip(NEXT) | instid1(VALU_DEP_4)
	v_lshrrev_b32_e32 v6, s35, v6
	v_cmp_le_i32_e64 s1, s36, v5
	s_delay_alu instid0(VALU_DEP_2) | instskip(SKIP_1) | instid1(VALU_DEP_3)
	v_mad_u64_u32 v[8:9], null, s39, v6, v[3:4]
	v_add_nc_u32_e32 v3, 0x400, v3
	s_or_b32 s3, s1, s3
	ds_store_b32 v8, v4
	s_and_not1_b32 exec_lo, exec_lo, s3
	s_cbranch_execnz .LBB14_10
.LBB14_11:
	s_or_b32 exec_lo, exec_lo, s38
	s_lshl_b32 s1, s37, 3
	s_mul_i32 s39, s28, s33
	s_add_i32 s38, s1, 0
	v_cmp_gt_i32_e32 vcc_lo, s39, v0
	s_cmp_gt_i32 s8, 0
	s_mov_b32 s3, 0
	s_cselect_b32 s40, -1, 0
	s_cmp_lt_i32 s8, 1
	s_waitcnt lgkmcnt(0)
	s_waitcnt_vscnt null, 0x0
	s_barrier
	buffer_gl0_inv
	s_cbranch_scc1 .LBB14_19
; %bb.12:
	v_mad_u64_u32 v[1:2], null, v0, s29, 0
	v_mov_b32_e32 v4, 0
	s_mov_b32 s2, s29
	s_mov_b32 s42, 0
	s_lshl_b64 s[4:5], s[2:3], 8
	s_branch .LBB14_14
.LBB14_13:                              ;   in Loop: Header=BB14_14 Depth=1
	s_set_inst_prefetch_distance 0x2
	s_or_b32 exec_lo, exec_lo, s43
	s_add_i32 s42, s42, s33
	s_add_i32 s3, s3, s39
	s_cmp_ge_i32 s42, s8
	s_waitcnt lgkmcnt(0)
	s_barrier
	buffer_gl0_inv
	s_cbranch_scc1 .LBB14_19
.LBB14_14:                              ; =>This Loop Header: Depth=1
                                        ;     Child Loop BB14_17 Depth 2
	s_and_saveexec_b32 s43, vcc_lo
	s_cbranch_execz .LBB14_13
; %bb.15:                               ;   in Loop: Header=BB14_14 Depth=1
	v_dual_mov_b32 v6, v2 :: v_dual_mov_b32 v5, v1
	v_mov_b32_e32 v8, v0
	s_mov_b32 s44, 0
	s_set_inst_prefetch_distance 0x1
	s_branch .LBB14_17
	.p2align	6
.LBB14_16:                              ;   in Loop: Header=BB14_17 Depth=2
	s_or_b32 exec_lo, exec_lo, s2
	v_add_nc_u32_e32 v8, 0x100, v8
	v_add_co_u32 v5, s2, v5, s4
	s_delay_alu instid0(VALU_DEP_1) | instskip(NEXT) | instid1(VALU_DEP_3)
	v_add_co_ci_u32_e64 v6, s2, s5, v6, s2
	v_cmp_le_i32_e64 s1, s39, v8
	s_waitcnt vmcnt(48) lgkmcnt(7)
	s_delay_alu instid0(VALU_DEP_1) | instskip(NEXT) | instid1(SALU_CYCLE_1)
	s_or_b32 s44, s1, s44
	s_and_not1_b32 exec_lo, exec_lo, s44
	s_cbranch_execz .LBB14_13
.LBB14_17:                              ;   Parent Loop BB14_14 Depth=1
                                        ; =>  This Inner Loop Header: Depth=2
	s_delay_alu instid0(VALU_DEP_1) | instskip(SKIP_1) | instid1(VALU_DEP_1)
	v_add_nc_u32_e32 v3, v8, v6
	s_mov_b32 s2, exec_lo
	v_lshrrev_b32_e32 v9, s30, v3
	s_delay_alu instid0(VALU_DEP_1) | instskip(NEXT) | instid1(VALU_DEP_1)
	v_add_nc_u32_e32 v3, s42, v9
	v_cmpx_gt_i32_e64 s8, v3
	s_cbranch_execz .LBB14_16
; %bb.18:                               ;   in Loop: Header=BB14_17 Depth=2
	v_add_nc_u32_e32 v3, s3, v8
	v_mul_lo_u32 v9, v9, s37
	s_delay_alu instid0(VALU_DEP_2) | instskip(NEXT) | instid1(VALU_DEP_2)
	v_lshlrev_b64 v[10:11], 2, v[3:4]
	v_lshlrev_b32_e32 v9, 2, v9
	s_delay_alu instid0(VALU_DEP_2) | instskip(NEXT) | instid1(VALU_DEP_1)
	v_add_co_u32 v10, s1, s12, v10
	v_add_co_ci_u32_e64 v11, s1, s13, v11, s1
	global_load_b32 v3, v[10:11], off
	s_waitcnt vmcnt(0)
	v_lshlrev_b32_e32 v3, 2, v3
	s_delay_alu instid0(VALU_DEP_1)
	v_add3_u32 v3, s38, v3, v9
	ds_load_b32 v9, v3
	s_waitcnt lgkmcnt(0)
	v_add_nc_u32_e32 v9, 1, v9
	ds_store_b32 v3, v9
	s_branch .LBB14_16
.LBB14_19:
	s_mov_b32 s1, exec_lo
	v_cmpx_eq_u32_e32 0, v0
	s_cbranch_execz .LBB14_21
; %bb.20:
	v_mov_b32_e32 v1, 0
	ds_store_b32 v1, v1
.LBB14_21:
	s_or_b32 exec_lo, exec_lo, s1
	v_and_b32_e32 v9, 7, v0
	v_lshrrev_b32_e32 v10, 3, v0
	v_mbcnt_lo_u32_b32 v12, -1, 0
	s_mov_b32 s4, 0
	s_delay_alu instid0(VALU_DEP_3) | instskip(NEXT) | instid1(VALU_DEP_3)
	v_mul_lo_u32 v1, s37, v9
	v_cmp_gt_i32_e64 s1, s9, v10
	v_lshlrev_b32_e32 v8, 2, v10
	s_delay_alu instid0(VALU_DEP_3) | instskip(NEXT) | instid1(VALU_DEP_3)
	v_lshlrev_b32_e32 v11, 2, v1
	s_and_saveexec_b32 s3, s1
	s_cbranch_execz .LBB14_29
; %bb.22:
	s_cmp_gt_i32 s24, 2
	s_mul_i32 s24, s9, 0x68
	s_mul_i32 s42, s9, 0x48
	s_cselect_b32 s5, -1, 0
	s_add_i32 s24, s24, 0
	s_add_i32 s42, s42, 0
	v_dual_mov_b32 v14, v10 :: v_dual_lshlrev_b32 v3, 2, v12
	v_add3_u32 v4, s24, v11, 0x68
	v_add3_u32 v5, s42, v11, 0x48
	s_mul_i32 s24, s9, 40
	s_lshl_b32 s42, s9, 3
	s_add_i32 s24, s24, 0
	s_add_i32 s42, s42, 0
	v_cmp_eq_u32_e64 s2, 0, v9
	v_xor_b32_e32 v1, 4, v3
	v_xor_b32_e32 v2, 8, v3
	;; [unrolled: 1-line block ×3, first 2 shown]
	v_add3_u32 v6, s24, v11, 40
	v_add3_u32 v13, s42, v11, 8
	s_lshl_b32 s24, s9, 7
	s_delay_alu instid0(SALU_CYCLE_1)
	s_addk_i32 s24, 0x80
	s_branch .LBB14_24
.LBB14_23:                              ;   in Loop: Header=BB14_24 Depth=1
	s_or_b32 exec_lo, exec_lo, s42
	v_add_nc_u32_e32 v14, 32, v14
	v_add_nc_u32_e32 v4, 0x80, v4
	;; [unrolled: 1-line block ×5, first 2 shown]
	v_cmp_le_i32_e32 vcc_lo, s9, v14
	s_or_b32 s4, vcc_lo, s4
	s_delay_alu instid0(SALU_CYCLE_1)
	s_and_not1_b32 exec_lo, exec_lo, s4
	s_cbranch_execz .LBB14_29
.LBB14_24:                              ; =>This Loop Header: Depth=1
                                        ;     Child Loop BB14_26 Depth 2
	v_mov_b32_e32 v15, 0
	s_and_not1_b32 vcc_lo, exec_lo, s5
	s_cbranch_vccnz .LBB14_27
; %bb.25:                               ;   in Loop: Header=BB14_24 Depth=1
	v_dual_mov_b32 v15, 0 :: v_dual_mov_b32 v16, v13
	v_dual_mov_b32 v17, v6 :: v_dual_mov_b32 v18, v5
	v_mov_b32_e32 v19, v4
	s_mov_b32 s42, 0
.LBB14_26:                              ;   Parent Loop BB14_24 Depth=1
                                        ; =>  This Inner Loop Header: Depth=2
	s_delay_alu instid0(VALU_DEP_3) | instskip(NEXT) | instid1(VALU_DEP_3)
	v_add_nc_u32_e32 v20, v16, v8
	v_add_nc_u32_e32 v21, v17, v8
	;; [unrolled: 1-line block ×5, first 2 shown]
	ds_load_b32 v20, v20
	ds_load_b32 v21, v21
	;; [unrolled: 1-line block ×4, first 2 shown]
	v_add_nc_u32_e32 v18, s24, v18
	v_add_nc_u32_e32 v17, s24, v17
	v_add_nc_u32_e32 v16, s24, v16
	s_add_i32 s42, s42, 32
	s_delay_alu instid0(SALU_CYCLE_1)
	s_cmp_lt_i32 s42, s33
	s_waitcnt lgkmcnt(3)
	ds_bpermute_b32 v24, v1, v20
	s_waitcnt lgkmcnt(3)
	ds_bpermute_b32 v25, v1, v21
	;; [unrolled: 2-line block ×4, first 2 shown]
	s_waitcnt lgkmcnt(3)
	v_add_nc_u32_e32 v20, v24, v20
	s_waitcnt lgkmcnt(2)
	v_add_nc_u32_e32 v21, v25, v21
	;; [unrolled: 2-line block ×4, first 2 shown]
	ds_bpermute_b32 v24, v2, v20
	ds_bpermute_b32 v25, v2, v21
	ds_bpermute_b32 v26, v2, v22
	ds_bpermute_b32 v27, v2, v23
	s_waitcnt lgkmcnt(3)
	v_add_nc_u32_e32 v20, v24, v20
	s_waitcnt lgkmcnt(2)
	v_add_nc_u32_e32 v21, v25, v21
	;; [unrolled: 2-line block ×4, first 2 shown]
	ds_bpermute_b32 v24, v3, v20
	ds_bpermute_b32 v25, v3, v21
	ds_bpermute_b32 v26, v3, v22
	ds_bpermute_b32 v27, v3, v23
	s_waitcnt lgkmcnt(3)
	v_add3_u32 v15, v20, v15, v24
	s_waitcnt lgkmcnt(2)
	s_delay_alu instid0(VALU_DEP_1) | instskip(SKIP_1) | instid1(VALU_DEP_1)
	v_add3_u32 v15, v15, v21, v25
	s_waitcnt lgkmcnt(1)
	v_add3_u32 v15, v15, v22, v26
	s_waitcnt lgkmcnt(0)
	s_delay_alu instid0(VALU_DEP_1)
	v_add3_u32 v15, v15, v23, v27
	s_cbranch_scc1 .LBB14_26
.LBB14_27:                              ;   in Loop: Header=BB14_24 Depth=1
	s_and_saveexec_b32 s42, s2
	s_cbranch_execz .LBB14_23
; %bb.28:                               ;   in Loop: Header=BB14_24 Depth=1
	v_lshl_add_u32 v16, v14, 2, 0
	ds_store_b32 v16, v15 offset:4
	s_branch .LBB14_23
.LBB14_29:
	s_or_b32 exec_lo, exec_lo, s3
	s_lshl_b32 s5, s9, 2
	v_cmp_gt_i32_e64 s2, s9, v0
	s_add_i32 s42, s5, 0
	s_delay_alu instid0(SALU_CYCLE_1)
	v_dual_mov_b32 v1, 0 :: v_dual_mov_b32 v2, s42
	s_mov_b32 s4, 0
	ds_store_b32 v2, v1 offset:4
	s_and_saveexec_b32 s24, s2
	s_cbranch_execz .LBB14_32
; %bb.30:
	v_add_co_u32 v1, s3, s10, v7
	v_add3_u32 v3, s42, v7, 8
	v_add_co_ci_u32_e64 v2, null, s11, 0, s3
	v_mov_b32_e32 v4, v0
	.p2align	6
.LBB14_31:                              ; =>This Inner Loop Header: Depth=1
	global_load_b32 v5, v[1:2], off
	v_add_nc_u32_e32 v4, 0x100, v4
	v_add_co_u32 v1, vcc_lo, 0x400, v1
	v_add_co_ci_u32_e32 v2, vcc_lo, 0, v2, vcc_lo
	s_delay_alu instid0(VALU_DEP_3) | instskip(NEXT) | instid1(VALU_DEP_1)
	v_cmp_le_i32_e64 s3, s9, v4
	s_or_b32 s4, s3, s4
	s_waitcnt vmcnt(0)
	ds_store_b32 v3, v5
	v_add_nc_u32_e32 v3, 0x400, v3
	s_and_not1_b32 exec_lo, exec_lo, s4
	s_cbranch_execnz .LBB14_31
.LBB14_32:
	s_or_b32 exec_lo, exec_lo, s24
	s_add_i32 s24, s42, 4
	s_cmp_lg_u32 s41, 0
	s_mov_b32 s41, 0
	s_waitcnt lgkmcnt(0)
	s_barrier
	buffer_gl0_inv
	s_cbranch_scc1 .LBB14_43
; %bb.33:
	v_mov_b32_e32 v1, 0
	s_cmp_lt_i32 s9, 1
	s_cbranch_scc1 .LBB14_40
; %bb.34:
	v_lshlrev_b32_e32 v1, 2, v12
	v_cmp_eq_u32_e32 vcc_lo, 0, v12
	v_cmp_lt_u32_e64 s3, 15, v12
	s_add_i32 s43, s25, -1
	s_delay_alu instid0(VALU_DEP_3) | instskip(SKIP_1) | instid1(VALU_DEP_2)
	v_and_b32_e32 v2, 64, v1
	v_add_nc_u32_e32 v3, 0, v1
	v_add_nc_u32_e32 v2, -4, v2
	s_branch .LBB14_36
.LBB14_35:                              ;   in Loop: Header=BB14_36 Depth=1
	s_or_b32 exec_lo, exec_lo, s44
	v_add_nc_u32_e32 v3, 0x80, v3
	s_add_i32 s41, s41, 32
	s_waitcnt vmcnt(48) lgkmcnt(7)
	s_cmp_lt_i32 s41, s9
	s_cbranch_scc0 .LBB14_40
.LBB14_36:                              ; =>This Inner Loop Header: Depth=1
	ds_load_b32 v1, v3 offset:4
	v_add_nc_u32_e32 v4, s5, v3
	s_waitcnt lgkmcnt(1)
	v_cndmask_b32_e64 v6, 0, s41, vcc_lo
	ds_load_b32 v5, v4 offset:8
	v_lshlrev_b32_e32 v6, 2, v6
	s_delay_alu instid0(VALU_DEP_1) | instskip(SKIP_4) | instid1(VALU_DEP_1)
	v_add_nc_u32_e32 v14, 0, v6
	v_add_nc_u32_e32 v6, s24, v6
	ds_load_b32 v6, v6
	s_waitcnt lgkmcnt(2)
	v_add_nc_u32_e32 v1, s43, v1
	v_mul_hi_u32 v13, v1, s26
	s_waitcnt lgkmcnt(1)
	v_cmp_ne_u32_e64 s4, 0, v5
	s_delay_alu instid0(VALU_DEP_2) | instskip(SKIP_3) | instid1(VALU_DEP_1)
	v_add_nc_u32_e32 v1, v1, v13
	ds_load_b32 v13, v14
	v_add_nc_u32_e32 v14, s41, v12
	v_lshrrev_b32_e32 v1, s27, v1
	v_mul_lo_u32 v1, v1, s25
	s_delay_alu instid0(VALU_DEP_1) | instskip(NEXT) | instid1(VALU_DEP_4)
	v_cndmask_b32_e64 v1, 0, v1, s4
	v_cmp_gt_i32_e64 s4, s9, v14
	s_waitcnt lgkmcnt(0)
	s_delay_alu instid0(VALU_DEP_2) | instskip(NEXT) | instid1(VALU_DEP_1)
	v_add_nc_u32_e32 v1, v1, v13
	v_add_nc_u32_dpp v1, v1, v1 row_shr:1 row_mask:0xf bank_mask:0xf bound_ctrl:1
	s_delay_alu instid0(VALU_DEP_1) | instskip(NEXT) | instid1(VALU_DEP_1)
	v_add_nc_u32_dpp v1, v1, v1 row_shr:2 row_mask:0xf bank_mask:0xf bound_ctrl:1
	v_add_nc_u32_dpp v1, v1, v1 row_shr:4 row_mask:0xf bank_mask:0xf bound_ctrl:1
	s_delay_alu instid0(VALU_DEP_1) | instskip(SKIP_3) | instid1(VALU_DEP_1)
	v_add_nc_u32_dpp v1, v1, v1 row_shr:8 row_mask:0xf bank_mask:0xf bound_ctrl:1
	ds_bpermute_b32 v13, v2, v1
	s_waitcnt lgkmcnt(0)
	v_cndmask_b32_e64 v13, 0, v13, s3
	v_add_nc_u32_e32 v1, v1, v13
	s_and_saveexec_b32 s44, s4
	s_cbranch_execz .LBB14_38
; %bb.37:                               ;   in Loop: Header=BB14_36 Depth=1
	ds_store_b32 v3, v1 offset:4
.LBB14_38:                              ;   in Loop: Header=BB14_36 Depth=1
	s_or_b32 exec_lo, exec_lo, s44
	v_add_nc_u32_e32 v5, v5, v6
	s_delay_alu instid0(VALU_DEP_1) | instskip(NEXT) | instid1(VALU_DEP_1)
	v_add_nc_u32_dpp v5, v5, v5 row_shr:1 row_mask:0xf bank_mask:0xf bound_ctrl:1
	v_add_nc_u32_dpp v5, v5, v5 row_shr:2 row_mask:0xf bank_mask:0xf bound_ctrl:1
	s_delay_alu instid0(VALU_DEP_1) | instskip(NEXT) | instid1(VALU_DEP_1)
	v_add_nc_u32_dpp v5, v5, v5 row_shr:4 row_mask:0xf bank_mask:0xf bound_ctrl:1
	v_add_nc_u32_dpp v5, v5, v5 row_shr:8 row_mask:0xf bank_mask:0xf bound_ctrl:1
	ds_bpermute_b32 v6, v2, v5
	s_and_saveexec_b32 s44, s4
	s_cbranch_execz .LBB14_35
; %bb.39:                               ;   in Loop: Header=BB14_36 Depth=1
	s_waitcnt lgkmcnt(0)
	v_cndmask_b32_e64 v6, 0, v6, s3
	s_delay_alu instid0(VALU_DEP_1)
	v_add_nc_u32_e32 v5, v6, v5
	ds_store_b32 v4, v5 offset:8
	s_branch .LBB14_35
.LBB14_40:
	v_add3_u32 v2, v12, s41, 0xffffffe1
	s_mov_b32 s3, exec_lo
	s_delay_alu instid0(VALU_DEP_1)
	v_cmpx_eq_u32_e64 s9, v2
	s_cbranch_execz .LBB14_42
; %bb.41:
	v_dual_mov_b32 v3, 0 :: v_dual_mov_b32 v2, s8
	global_store_b64 v3, v[1:2], s[22:23]
.LBB14_42:
	s_or_b32 exec_lo, exec_lo, s3
.LBB14_43:
	s_cmp_eq_u64 s[6:7], 0
	s_waitcnt lgkmcnt(0)
	s_waitcnt_vscnt null, 0x0
	s_barrier
	buffer_gl0_inv
	s_cbranch_scc1 .LBB14_50
; %bb.44:
	s_mul_i32 s4, s28, s8
	s_mov_b32 s22, exec_lo
	v_cmpx_gt_i32_e64 s4, v0
	s_cbranch_execz .LBB14_49
; %bb.45:
	v_add_co_u32 v1, s3, s12, v7
	s_delay_alu instid0(VALU_DEP_1) | instskip(SKIP_1) | instid1(VALU_DEP_1)
	v_add_co_ci_u32_e64 v2, null, s13, 0, s3
	v_add_co_u32 v3, s3, s6, v7
	v_add_co_ci_u32_e64 v4, null, s7, 0, s3
	v_mov_b32_e32 v13, v0
	s_mov_b32 s6, 0
	s_set_inst_prefetch_distance 0x1
	s_branch .LBB14_47
	.p2align	6
.LBB14_46:                              ;   in Loop: Header=BB14_47 Depth=1
	s_or_b32 exec_lo, exec_lo, s3
	v_add_nc_u32_e32 v13, 0x100, v13
	v_add_co_u32 v1, vcc_lo, 0x400, v1
	v_add_co_ci_u32_e32 v2, vcc_lo, 0, v2, vcc_lo
	s_waitcnt lgkmcnt(0)
	global_store_b32 v[3:4], v6, off
	v_cmp_le_i32_e32 vcc_lo, s4, v13
	v_add_co_u32 v3, s3, 0x400, v3
	s_delay_alu instid0(VALU_DEP_1) | instskip(SKIP_1) | instid1(SALU_CYCLE_1)
	v_add_co_ci_u32_e64 v4, s3, 0, v4, s3
	s_or_b32 s6, vcc_lo, s6
	s_and_not1_b32 exec_lo, exec_lo, s6
	s_cbranch_execz .LBB14_49
.LBB14_47:                              ; =>This Inner Loop Header: Depth=1
	global_load_b32 v5, v[1:2], off
	s_waitcnt vmcnt(0)
	v_ashrrev_i32_e32 v6, 31, v5
	s_delay_alu instid0(VALU_DEP_1) | instskip(NEXT) | instid1(VALU_DEP_1)
	v_lshlrev_b64 v[14:15], 2, v[5:6]
	v_add_co_u32 v14, vcc_lo, s10, v14
	s_delay_alu instid0(VALU_DEP_2)
	v_add_co_ci_u32_e32 v15, vcc_lo, s11, v15, vcc_lo
	global_load_b32 v6, v[14:15], off
	s_waitcnt vmcnt(0)
	v_cmp_ne_u32_e32 vcc_lo, 0, v6
	v_mov_b32_e32 v6, -1
	s_and_saveexec_b32 s3, vcc_lo
	s_cbranch_execz .LBB14_46
; %bb.48:                               ;   in Loop: Header=BB14_47 Depth=1
	v_lshl_add_u32 v5, v5, 2, s24
	ds_load_b32 v6, v5
	s_branch .LBB14_46
.LBB14_49:
	s_set_inst_prefetch_distance 0x2
	s_or_b32 exec_lo, exec_lo, s22
	s_waitcnt_vscnt null, 0x0
	s_barrier
	buffer_gl0_inv
.LBB14_50:
	s_and_saveexec_b32 s4, s2
	s_cbranch_execz .LBB14_57
; %bb.51:
	v_dual_mov_b32 v2, 0 :: v_dual_mov_b32 v3, v0
	s_mov_b32 s6, 0
	s_branch .LBB14_53
.LBB14_52:                              ;   in Loop: Header=BB14_53 Depth=1
	s_or_b32 exec_lo, exec_lo, s7
	v_add_nc_u32_e32 v3, 0x100, v3
	s_delay_alu instid0(VALU_DEP_1) | instskip(SKIP_1) | instid1(SALU_CYCLE_1)
	v_cmp_le_i32_e32 vcc_lo, s9, v3
	s_or_b32 s6, vcc_lo, s6
	s_and_not1_b32 exec_lo, exec_lo, s6
	s_cbranch_execz .LBB14_57
.LBB14_53:                              ; =>This Loop Header: Depth=1
                                        ;     Child Loop BB14_56 Depth 2
	s_delay_alu instid0(VALU_DEP_1) | instskip(SKIP_1) | instid1(VALU_DEP_1)
	v_lshlrev_b32_e32 v1, 2, v3
	s_mov_b32 s7, exec_lo
	v_add_nc_u32_e32 v4, 0, v1
	v_add_nc_u32_e32 v1, s24, v1
	ds_load_2addr_b32 v[5:6], v4 offset1:1
	s_waitcnt lgkmcnt(2)
	ds_load_b32 v13, v1
	s_waitcnt lgkmcnt(1)
	ds_store_b32 v1, v5
	v_cmpx_ne_u32_e64 v5, v6
	s_cbranch_execz .LBB14_52
; %bb.54:                               ;   in Loop: Header=BB14_53 Depth=1
	v_mov_b32_e32 v4, v2
	v_cmp_lt_i32_e64 s3, v5, v6
	s_delay_alu instid0(VALU_DEP_2) | instskip(NEXT) | instid1(VALU_DEP_1)
	v_lshlrev_b64 v[14:15], 2, v[3:4]
	v_add_co_u32 v14, vcc_lo, s10, v14
	s_delay_alu instid0(VALU_DEP_2) | instskip(SKIP_4) | instid1(SALU_CYCLE_1)
	v_add_co_ci_u32_e32 v15, vcc_lo, s11, v15, vcc_lo
	global_load_b32 v1, v[14:15], off
	s_waitcnt vmcnt(0)
	v_cmp_ne_u32_e32 vcc_lo, 0, v1
	s_and_b32 s3, s3, vcc_lo
	s_and_b32 exec_lo, exec_lo, s3
	s_cbranch_execz .LBB14_52
; %bb.55:                               ;   in Loop: Header=BB14_53 Depth=1
	s_mov_b32 s22, 0
	.p2align	6
.LBB14_56:                              ;   Parent Loop BB14_53 Depth=1
                                        ; =>  This Inner Loop Header: Depth=2
	v_mul_hi_u32 v1, s26, v5
	s_delay_alu instid0(VALU_DEP_1) | instskip(SKIP_1) | instid1(VALU_DEP_2)
	v_add_nc_u32_e32 v1, v5, v1
	v_add_nc_u32_e32 v5, s25, v5
	v_lshrrev_b32_e32 v1, s27, v1
	s_delay_alu instid0(VALU_DEP_2) | instskip(NEXT) | instid1(VALU_DEP_2)
	v_cmp_ge_i32_e32 vcc_lo, v5, v6
	v_lshlrev_b64 v[14:15], 2, v[1:2]
	s_or_b32 s22, vcc_lo, s22
	s_delay_alu instid0(VALU_DEP_1) | instskip(NEXT) | instid1(VALU_DEP_1)
	v_add_co_u32 v14, s3, s20, v14
	v_add_co_ci_u32_e64 v15, s3, s21, v15, s3
	s_waitcnt lgkmcnt(1)
	global_store_b32 v[14:15], v13, off
	s_and_not1_b32 exec_lo, exec_lo, s22
	s_cbranch_execnz .LBB14_56
	s_branch .LBB14_52
.LBB14_57:
	s_or_b32 exec_lo, exec_lo, s4
	s_add_i32 s3, s42, s5
	s_delay_alu instid0(SALU_CYCLE_1)
	v_dual_mov_b32 v1, s42 :: v_dual_mov_b32 v2, s3
	s_waitcnt lgkmcnt(0)
	s_waitcnt_vscnt null, 0x0
	s_barrier
	buffer_gl0_inv
	ds_load_b32 v1, v1
	s_and_not1_b32 vcc_lo, exec_lo, s40
	s_waitcnt lgkmcnt(0)
	ds_store_b32 v2, v1 offset:4
	s_cbranch_vccnz .LBB14_79
; %bb.58:
	s_sub_i32 s5, s37, s31
	s_add_u32 s22, s16, -4
	s_addc_u32 s23, s17, -1
	s_add_u32 s25, s14, -4
	s_addc_u32 s26, s15, -1
	v_dual_mov_b32 v6, 0 :: v_dual_and_b32 v1, 8, v12
	s_add_u32 s27, s18, -4
	s_addc_u32 s31, s19, -1
	s_lshl_b32 s41, s9, 3
	s_delay_alu instid0(VALU_DEP_1)
	v_cmp_eq_u32_e64 s4, 0, v1
	v_add3_u32 v5, v11, s41, v8
	v_mad_u64_u32 v[1:2], null, v0, s34, 0
	v_mad_u64_u32 v[3:4], null, v0, s29, 0
	v_mul_lo_u32 v11, s28, v9
	s_add_i32 s14, s41, 0
	s_mov_b32 s7, 0
	v_cmp_gt_i32_e32 vcc_lo, s39, v0
	v_cmp_gt_i32_e64 s3, s33, v9
	v_or_b32_e32 v12, 28, v7
	v_add3_u32 v13, s14, v7, 8
	v_add3_u32 v14, v5, 0, 8
	s_mov_b32 s6, s34
	s_mov_b32 s20, s29
	;; [unrolled: 1-line block ×3, first 2 shown]
	s_lshl_b32 s41, s9, 5
	s_lshl_b32 s40, s5, 2
	s_lshl_b64 s[14:15], s[6:7], 8
	s_sub_i32 s34, 0, s28
	s_lshl_b64 s[20:21], s[20:21], 8
	s_lshl_b32 s29, s28, 3
	s_add_i32 s41, s41, 32
	s_mov_b32 s42, s7
	s_branch .LBB14_60
.LBB14_59:                              ;   in Loop: Header=BB14_60 Depth=1
	s_or_b32 exec_lo, exec_lo, s43
	v_add_nc_u32_e32 v11, s39, v11
	s_add_i32 s42, s42, s33
	s_add_i32 s7, s7, s39
	s_cmp_ge_i32 s42, s8
	s_waitcnt lgkmcnt(0)
	s_waitcnt_vscnt null, 0x0
	s_barrier
	buffer_gl0_inv
	s_cbranch_scc1 .LBB14_79
.LBB14_60:                              ; =>This Loop Header: Depth=1
                                        ;     Child Loop BB14_62 Depth 2
                                        ;     Child Loop BB14_66 Depth 2
	;; [unrolled: 1-line block ×3, first 2 shown]
                                        ;       Child Loop BB14_77 Depth 3
	s_and_saveexec_b32 s43, s0
	s_cbranch_execz .LBB14_63
; %bb.61:                               ;   in Loop: Header=BB14_60 Depth=1
	v_dual_mov_b32 v8, v2 :: v_dual_mov_b32 v7, v1
	v_mov_b32_e32 v5, v13
	v_mov_b32_e32 v15, v0
	s_mov_b32 s44, 0
	.p2align	6
.LBB14_62:                              ;   Parent Loop BB14_60 Depth=1
                                        ; =>  This Inner Loop Header: Depth=2
	s_delay_alu instid0(VALU_DEP_1) | instskip(SKIP_2) | instid1(VALU_DEP_1)
	v_add_nc_u32_e32 v16, v15, v8
	v_add_nc_u32_e32 v15, 0x100, v15
	v_add_co_u32 v7, s5, v7, s14
	v_add_co_ci_u32_e64 v8, s5, s15, v8, s5
	s_delay_alu instid0(VALU_DEP_4) | instskip(NEXT) | instid1(VALU_DEP_4)
	v_lshrrev_b32_e32 v18, s35, v16
	v_cmp_le_i32_e64 s6, s36, v15
	s_delay_alu instid0(VALU_DEP_2) | instskip(SKIP_1) | instid1(VALU_DEP_3)
	v_mad_u64_u32 v[16:17], null, s40, v18, v[5:6]
	v_add_nc_u32_e32 v5, 0x400, v5
	s_or_b32 s44, s6, s44
	ds_store_b32 v16, v6
	s_and_not1_b32 exec_lo, exec_lo, s44
	s_cbranch_execnz .LBB14_62
.LBB14_63:                              ;   in Loop: Header=BB14_60 Depth=1
	s_or_b32 exec_lo, exec_lo, s43
	s_waitcnt lgkmcnt(0)
	s_barrier
	buffer_gl0_inv
	s_and_saveexec_b32 s43, vcc_lo
	s_cbranch_execz .LBB14_68
; %bb.64:                               ;   in Loop: Header=BB14_60 Depth=1
	v_dual_mov_b32 v8, v4 :: v_dual_mov_b32 v7, v3
	v_mov_b32_e32 v5, v0
	s_mov_b32 s44, 0
	s_set_inst_prefetch_distance 0x1
	s_branch .LBB14_66
	.p2align	6
.LBB14_65:                              ;   in Loop: Header=BB14_66 Depth=2
	s_or_b32 exec_lo, exec_lo, s6
	v_add_nc_u32_e32 v5, 0x100, v5
	v_add_co_u32 v7, s6, v7, s20
	s_delay_alu instid0(VALU_DEP_1) | instskip(NEXT) | instid1(VALU_DEP_3)
	v_add_co_ci_u32_e64 v8, s6, s21, v8, s6
	v_cmp_le_i32_e64 s5, s39, v5
	s_delay_alu instid0(VALU_DEP_1) | instskip(NEXT) | instid1(SALU_CYCLE_1)
	s_or_b32 s44, s5, s44
	s_and_not1_b32 exec_lo, exec_lo, s44
	s_cbranch_execz .LBB14_68
.LBB14_66:                              ;   Parent Loop BB14_60 Depth=1
                                        ; =>  This Inner Loop Header: Depth=2
	s_delay_alu instid0(VALU_DEP_1) | instskip(SKIP_1) | instid1(VALU_DEP_1)
	v_add_nc_u32_e32 v15, v5, v8
	s_mov_b32 s6, exec_lo
	v_lshrrev_b32_e32 v15, s30, v15
	s_delay_alu instid0(VALU_DEP_1) | instskip(NEXT) | instid1(VALU_DEP_1)
	v_add_nc_u32_e32 v16, s42, v15
	v_cmpx_gt_i32_e64 s8, v16
	s_cbranch_execz .LBB14_65
; %bb.67:                               ;   in Loop: Header=BB14_66 Depth=2
	v_add_nc_u32_e32 v16, s7, v5
	s_delay_alu instid0(VALU_DEP_1) | instskip(NEXT) | instid1(VALU_DEP_1)
	v_ashrrev_i32_e32 v17, 31, v16
	v_lshlrev_b64 v[16:17], 2, v[16:17]
	s_delay_alu instid0(VALU_DEP_1) | instskip(NEXT) | instid1(VALU_DEP_1)
	v_add_co_u32 v16, s5, s12, v16
	v_add_co_ci_u32_e64 v17, s5, s13, v17, s5
	global_load_b32 v16, v[16:17], off
	v_mul_lo_u32 v17, v15, s37
	v_mul_lo_u32 v15, s34, v15
	s_delay_alu instid0(VALU_DEP_2) | instskip(NEXT) | instid1(VALU_DEP_2)
	v_lshlrev_b32_e32 v17, 2, v17
	v_add3_u32 v15, v5, v15, 1
	s_waitcnt vmcnt(0)
	v_lshlrev_b32_e32 v16, 2, v16
	s_delay_alu instid0(VALU_DEP_1)
	v_add3_u32 v16, s38, v16, v17
	ds_store_b32 v16, v15
	s_branch .LBB14_65
.LBB14_68:                              ;   in Loop: Header=BB14_60 Depth=1
	s_set_inst_prefetch_distance 0x2
	s_or_b32 exec_lo, exec_lo, s43
	s_waitcnt lgkmcnt(0)
	s_barrier
	buffer_gl0_inv
	s_and_saveexec_b32 s43, s1
	s_cbranch_execz .LBB14_59
; %bb.69:                               ;   in Loop: Header=BB14_60 Depth=1
	v_mov_b32_e32 v7, v14
	v_mov_b32_e32 v5, v10
	s_mov_b32 s44, 0
	s_branch .LBB14_73
.LBB14_70:                              ;   in Loop: Header=BB14_73 Depth=2
	s_or_b32 exec_lo, exec_lo, s47
.LBB14_71:                              ;   in Loop: Header=BB14_73 Depth=2
	s_delay_alu instid0(SALU_CYCLE_1)
	s_or_b32 exec_lo, exec_lo, s46
	s_waitcnt lgkmcnt(0)
	ds_store_b32 v8, v15
.LBB14_72:                              ;   in Loop: Header=BB14_73 Depth=2
	s_or_b32 exec_lo, exec_lo, s45
	v_add_nc_u32_e32 v5, 32, v5
	v_add_nc_u32_e32 v7, 0x80, v7
	s_delay_alu instid0(VALU_DEP_2) | instskip(NEXT) | instid1(VALU_DEP_1)
	v_cmp_le_i32_e64 s5, s9, v5
	s_or_b32 s44, s5, s44
	s_delay_alu instid0(SALU_CYCLE_1)
	s_and_not1_b32 exec_lo, exec_lo, s44
	s_cbranch_execz .LBB14_59
.LBB14_73:                              ;   Parent Loop BB14_60 Depth=1
                                        ; =>  This Loop Header: Depth=2
                                        ;       Child Loop BB14_77 Depth 3
	s_delay_alu instid0(VALU_DEP_1) | instskip(SKIP_1) | instid1(VALU_DEP_1)
	v_lshlrev_b64 v[15:16], 2, v[5:6]
	s_mov_b32 s45, exec_lo
	v_add_co_u32 v15, s5, s10, v15
	s_delay_alu instid0(VALU_DEP_1)
	v_add_co_ci_u32_e64 v16, s5, s11, v16, s5
	global_load_b32 v8, v[15:16], off
	s_waitcnt vmcnt(0)
	v_cmpx_ne_u32_e32 0, v8
	s_cbranch_execz .LBB14_72
; %bb.74:                               ;   in Loop: Header=BB14_73 Depth=2
	v_lshl_add_u32 v8, v5, 2, 0
	ds_load_b32 v15, v8
	s_and_saveexec_b32 s46, s3
	s_cbranch_execz .LBB14_71
; %bb.75:                               ;   in Loop: Header=BB14_73 Depth=2
	v_mov_b32_e32 v16, v7
	v_dual_mov_b32 v17, v11 :: v_dual_mov_b32 v18, v9
	s_mov_b32 s47, 0
	s_branch .LBB14_77
.LBB14_76:                              ;   in Loop: Header=BB14_77 Depth=3
	s_or_b32 exec_lo, exec_lo, s6
	ds_bpermute_b32 v19, v12, v19
	v_add_nc_u32_e32 v18, 8, v18
	v_add_nc_u32_e32 v17, s29, v17
	;; [unrolled: 1-line block ×3, first 2 shown]
	s_delay_alu instid0(VALU_DEP_3) | instskip(NEXT) | instid1(VALU_DEP_1)
	v_cmp_le_i32_e64 s5, s33, v18
	s_or_b32 s47, s5, s47
	s_waitcnt lgkmcnt(0)
	v_add_nc_u32_e32 v15, v19, v15
	s_and_not1_b32 exec_lo, exec_lo, s47
	s_cbranch_execz .LBB14_70
.LBB14_77:                              ;   Parent Loop BB14_60 Depth=1
                                        ;     Parent Loop BB14_73 Depth=2
                                        ; =>    This Inner Loop Header: Depth=3
	ds_load_b32 v20, v16
	s_waitcnt lgkmcnt(0)
	v_cmp_ne_u32_e64 s5, 0, v20
	s_delay_alu instid0(VALU_DEP_1) | instskip(NEXT) | instid1(VALU_DEP_1)
	v_cndmask_b32_e64 v19, 0, 1, s5
	v_mov_b32_dpp v19, v19 row_shr:1 row_mask:0xf bank_mask:0xf bound_ctrl:1
	s_delay_alu instid0(VALU_DEP_1) | instskip(NEXT) | instid1(VALU_DEP_1)
	v_add_co_ci_u32_e64 v21, s6, 0, v19, s5
	v_mov_b32_dpp v21, v21 row_shr:2 row_mask:0xf bank_mask:0xf bound_ctrl:1
	s_delay_alu instid0(VALU_DEP_1) | instskip(NEXT) | instid1(VALU_DEP_1)
	v_add_co_ci_u32_e64 v19, s6, v21, v19, s5
	v_add_nc_u32_dpp v19, v19, v19 row_shr:4 row_mask:0xf bank_mask:0xf bound_ctrl:1
	s_delay_alu instid0(VALU_DEP_1) | instskip(NEXT) | instid1(VALU_DEP_1)
	v_add_nc_u32_dpp v19, v19, v19 row_shr:8 row_mask:0xf bank_mask:0xf bound_ctrl:1
	v_mov_b32_dpp v21, v19 row_share:7 row_mask:0xf bank_mask:0xf bound_ctrl:1
	s_delay_alu instid0(VALU_DEP_1) | instskip(NEXT) | instid1(VALU_DEP_1)
	v_cndmask_b32_e64 v21, v21, 0, s4
	v_sub_nc_u32_e32 v19, v19, v21
	s_and_saveexec_b32 s6, s5
	s_cbranch_execz .LBB14_76
; %bb.78:                               ;   in Loop: Header=BB14_77 Depth=3
	v_add_nc_u32_e32 v21, v17, v20
	v_add_nc_u32_e32 v23, s42, v18
	s_delay_alu instid0(VALU_DEP_2) | instskip(NEXT) | instid1(VALU_DEP_2)
	v_ashrrev_i32_e32 v22, 31, v21
	v_perm_b32 v23, v20, v23, 0x4020100
	s_delay_alu instid0(VALU_DEP_2) | instskip(NEXT) | instid1(VALU_DEP_2)
	v_lshlrev_b64 v[21:22], 2, v[21:22]
	v_add_nc_u32_e32 v25, 0xff000000, v23
	s_delay_alu instid0(VALU_DEP_2) | instskip(NEXT) | instid1(VALU_DEP_1)
	v_add_co_u32 v21, s5, s25, v21
	v_add_co_ci_u32_e64 v22, s5, s26, v22, s5
	global_load_b32 v24, v[21:22], off
	v_add_nc_u32_e32 v21, v19, v15
	s_delay_alu instid0(VALU_DEP_1) | instskip(NEXT) | instid1(VALU_DEP_1)
	v_ashrrev_i32_e32 v22, 31, v21
	v_lshlrev_b64 v[20:21], 2, v[21:22]
	s_delay_alu instid0(VALU_DEP_1) | instskip(NEXT) | instid1(VALU_DEP_1)
	v_add_co_u32 v22, s5, s22, v20
	v_add_co_ci_u32_e64 v23, s5, s23, v21, s5
	v_add_co_u32 v20, s5, s27, v20
	s_delay_alu instid0(VALU_DEP_1)
	v_add_co_ci_u32_e64 v21, s5, s31, v21, s5
	global_store_b32 v[22:23], v25, off
	s_waitcnt vmcnt(0)
	global_store_b32 v[20:21], v24, off
	s_branch .LBB14_76
.LBB14_79:
	s_and_saveexec_b32 s0, s2
	s_cbranch_execz .LBB14_85
; %bb.80:
	v_mov_b32_e32 v6, 0
	s_and_b32 s0, s8, 0xffffff
	s_lshl_b32 s1, s28, 24
	s_add_i32 s24, s24, 4
	s_or_b32 s1, s1, s0
	s_mov_b32 s2, 0
	s_set_inst_prefetch_distance 0x1
	s_branch .LBB14_82
	.p2align	6
.LBB14_81:                              ;   in Loop: Header=BB14_82 Depth=1
	s_or_b32 exec_lo, exec_lo, s3
	v_add_nc_u32_e32 v0, 0x100, v0
	s_delay_alu instid0(VALU_DEP_1) | instskip(SKIP_1) | instid1(SALU_CYCLE_1)
	v_cmp_le_i32_e32 vcc_lo, s9, v0
	s_or_b32 s2, vcc_lo, s2
	s_and_not1_b32 exec_lo, exec_lo, s2
	s_cbranch_execz .LBB14_85
.LBB14_82:                              ; =>This Loop Header: Depth=1
                                        ;     Child Loop BB14_84 Depth 2
	v_lshlrev_b32_e32 v1, 2, v0
	s_mov_b32 s3, exec_lo
	s_delay_alu instid0(VALU_DEP_1)
	v_add_nc_u32_e32 v2, 0, v1
	v_add_nc_u32_e32 v3, s24, v1
	ds_load_b32 v1, v2
	ds_load_b32 v7, v3
	s_waitcnt lgkmcnt(0)
	v_cmpx_lt_i32_e64 v1, v7
	s_cbranch_execz .LBB14_81
; %bb.83:                               ;   in Loop: Header=BB14_82 Depth=1
	v_ashrrev_i32_e32 v2, 31, v1
	s_mov_b32 s4, 0
	s_delay_alu instid0(VALU_DEP_1) | instskip(NEXT) | instid1(VALU_DEP_1)
	v_lshlrev_b64 v[4:5], 2, v[1:2]
	v_add_co_u32 v2, vcc_lo, s16, v4
	s_delay_alu instid0(VALU_DEP_2)
	v_add_co_ci_u32_e32 v3, vcc_lo, s17, v5, vcc_lo
	v_add_co_u32 v4, vcc_lo, s18, v4
	v_add_co_ci_u32_e32 v5, vcc_lo, s19, v5, vcc_lo
	.p2align	6
.LBB14_84:                              ;   Parent Loop BB14_82 Depth=1
                                        ; =>  This Inner Loop Header: Depth=2
	v_dual_mov_b32 v8, s1 :: v_dual_add_nc_u32 v1, 1, v1
	global_store_b32 v[4:5], v6, off
	v_add_co_u32 v4, vcc_lo, v4, 4
	v_add_co_ci_u32_e32 v5, vcc_lo, 0, v5, vcc_lo
	global_store_b32 v[2:3], v8, off
	v_cmp_ge_i32_e32 vcc_lo, v1, v7
	v_add_co_u32 v2, s0, v2, 4
	s_delay_alu instid0(VALU_DEP_1) | instskip(SKIP_1) | instid1(SALU_CYCLE_1)
	v_add_co_ci_u32_e64 v3, s0, 0, v3, s0
	s_or_b32 s4, vcc_lo, s4
	s_and_not1_b32 exec_lo, exec_lo, s4
	s_cbranch_execnz .LBB14_84
	s_branch .LBB14_81
.LBB14_85:
	s_set_inst_prefetch_distance 0x2
	s_nop 0
	s_sendmsg sendmsg(MSG_DEALLOC_VGPRS)
	s_endpgm
	.section	.rodata,"a",@progbits
	.p2align	6, 0x0
	.amdhsa_kernel _ZN5aiter22opus_moe_sorting_entryINS_16MoeSortingKernelINS_19MoeSortingProblemExIifLi4ELb0ELb1ELb0ELb1ELi0EEEEENS4_5KargsEEEvT0_
		.amdhsa_group_segment_fixed_size 0
		.amdhsa_private_segment_fixed_size 0
		.amdhsa_kernarg_size 400
		.amdhsa_user_sgpr_count 15
		.amdhsa_user_sgpr_dispatch_ptr 0
		.amdhsa_user_sgpr_queue_ptr 0
		.amdhsa_user_sgpr_kernarg_segment_ptr 1
		.amdhsa_user_sgpr_dispatch_id 0
		.amdhsa_user_sgpr_private_segment_size 0
		.amdhsa_wavefront_size32 1
		.amdhsa_uses_dynamic_stack 0
		.amdhsa_enable_private_segment 0
		.amdhsa_system_sgpr_workgroup_id_x 1
		.amdhsa_system_sgpr_workgroup_id_y 0
		.amdhsa_system_sgpr_workgroup_id_z 0
		.amdhsa_system_sgpr_workgroup_info 0
		.amdhsa_system_vgpr_workitem_id 0
		.amdhsa_next_free_vgpr 28
		.amdhsa_next_free_sgpr 48
		.amdhsa_reserve_vcc 1
		.amdhsa_float_round_mode_32 0
		.amdhsa_float_round_mode_16_64 0
		.amdhsa_float_denorm_mode_32 3
		.amdhsa_float_denorm_mode_16_64 3
		.amdhsa_dx10_clamp 1
		.amdhsa_ieee_mode 1
		.amdhsa_fp16_overflow 0
		.amdhsa_workgroup_processor_mode 1
		.amdhsa_memory_ordered 1
		.amdhsa_forward_progress 0
		.amdhsa_shared_vgpr_count 0
		.amdhsa_exception_fp_ieee_invalid_op 0
		.amdhsa_exception_fp_denorm_src 0
		.amdhsa_exception_fp_ieee_div_zero 0
		.amdhsa_exception_fp_ieee_overflow 0
		.amdhsa_exception_fp_ieee_underflow 0
		.amdhsa_exception_fp_ieee_inexact 0
		.amdhsa_exception_int_div_zero 0
	.end_amdhsa_kernel
	.section	.text._ZN5aiter22opus_moe_sorting_entryINS_16MoeSortingKernelINS_19MoeSortingProblemExIifLi4ELb0ELb1ELb0ELb1ELi0EEEEENS4_5KargsEEEvT0_,"axG",@progbits,_ZN5aiter22opus_moe_sorting_entryINS_16MoeSortingKernelINS_19MoeSortingProblemExIifLi4ELb0ELb1ELb0ELb1ELi0EEEEENS4_5KargsEEEvT0_,comdat
.Lfunc_end14:
	.size	_ZN5aiter22opus_moe_sorting_entryINS_16MoeSortingKernelINS_19MoeSortingProblemExIifLi4ELb0ELb1ELb0ELb1ELi0EEEEENS4_5KargsEEEvT0_, .Lfunc_end14-_ZN5aiter22opus_moe_sorting_entryINS_16MoeSortingKernelINS_19MoeSortingProblemExIifLi4ELb0ELb1ELb0ELb1ELi0EEEEENS4_5KargsEEEvT0_
                                        ; -- End function
	.section	.AMDGPU.csdata,"",@progbits
; Kernel info:
; codeLenInByte = 4240
; NumSgprs: 50
; NumVgprs: 28
; ScratchSize: 0
; MemoryBound: 0
; FloatMode: 240
; IeeeMode: 1
; LDSByteSize: 0 bytes/workgroup (compile time only)
; SGPRBlocks: 6
; VGPRBlocks: 3
; NumSGPRsForWavesPerEU: 50
; NumVGPRsForWavesPerEU: 28
; Occupancy: 16
; WaveLimiterHint : 1
; COMPUTE_PGM_RSRC2:SCRATCH_EN: 0
; COMPUTE_PGM_RSRC2:USER_SGPR: 15
; COMPUTE_PGM_RSRC2:TRAP_HANDLER: 0
; COMPUTE_PGM_RSRC2:TGID_X_EN: 1
; COMPUTE_PGM_RSRC2:TGID_Y_EN: 0
; COMPUTE_PGM_RSRC2:TGID_Z_EN: 0
; COMPUTE_PGM_RSRC2:TIDIG_COMP_CNT: 0
	.section	.text._ZN5aiter22opus_moe_sorting_entryINS_16MoeSortingKernelINS_19MoeSortingProblemExIifLi2ELb0ELb1ELb0ELb1ELi0EEEEENS4_5KargsEEEvT0_,"axG",@progbits,_ZN5aiter22opus_moe_sorting_entryINS_16MoeSortingKernelINS_19MoeSortingProblemExIifLi2ELb0ELb1ELb0ELb1ELi0EEEEENS4_5KargsEEEvT0_,comdat
	.protected	_ZN5aiter22opus_moe_sorting_entryINS_16MoeSortingKernelINS_19MoeSortingProblemExIifLi2ELb0ELb1ELb0ELb1ELi0EEEEENS4_5KargsEEEvT0_ ; -- Begin function _ZN5aiter22opus_moe_sorting_entryINS_16MoeSortingKernelINS_19MoeSortingProblemExIifLi2ELb0ELb1ELb0ELb1ELi0EEEEENS4_5KargsEEEvT0_
	.globl	_ZN5aiter22opus_moe_sorting_entryINS_16MoeSortingKernelINS_19MoeSortingProblemExIifLi2ELb0ELb1ELb0ELb1ELi0EEEEENS4_5KargsEEEvT0_
	.p2align	8
	.type	_ZN5aiter22opus_moe_sorting_entryINS_16MoeSortingKernelINS_19MoeSortingProblemExIifLi2ELb0ELb1ELb0ELb1ELi0EEEEENS4_5KargsEEEvT0_,@function
_ZN5aiter22opus_moe_sorting_entryINS_16MoeSortingKernelINS_19MoeSortingProblemExIifLi2ELb0ELb1ELb0ELb1ELi0EEEEENS4_5KargsEEEvT0_: ; @_ZN5aiter22opus_moe_sorting_entryINS_16MoeSortingKernelINS_19MoeSortingProblemExIifLi2ELb0ELb1ELb0ELb1ELi0EEEEENS4_5KargsEEEvT0_
; %bb.0:
	s_clause 0x1
	s_load_b256 s[16:23], s[0:1], 0x20
	s_load_b256 s[4:11], s[0:1], 0x40
	s_cmp_eq_u32 s15, 0
	s_cbranch_scc1 .LBB15_7
; %bb.1:
	s_waitcnt lgkmcnt(0)
	s_cmp_eq_u64 s[4:5], 0
	s_cbranch_scc1 .LBB15_6
; %bb.2:
	s_mul_i32 s2, s10, s8
	s_ashr_i32 s3, s11, 31
	s_mul_hi_u32 s12, s2, s11
	s_mul_i32 s3, s2, s3
	s_mul_hi_i32 s10, s10, s8
	s_add_i32 s3, s12, s3
	s_mul_i32 s10, s10, s11
	s_mul_i32 s2, s2, s11
	s_add_i32 s3, s3, s10
	v_mov_b32_e32 v2, 0
	s_ashr_i32 s10, s3, 31
	s_mov_b32 s13, 0
	s_lshr_b32 s10, s10, 28
	s_delay_alu instid0(SALU_CYCLE_1) | instskip(SKIP_2) | instid1(SALU_CYCLE_1)
	s_add_u32 s2, s2, s10
	s_addc_u32 s3, s3, 0
	s_lshl_b32 s10, s15, 8
	v_add3_u32 v1, v0, s10, 0xffffff00
	s_ashr_i64 s[10:11], s[2:3], 4
	s_mov_b32 s3, exec_lo
	s_delay_alu instid0(VALU_DEP_1)
	v_cmpx_gt_i64_e64 s[10:11], v[1:2]
	s_cbranch_execz .LBB15_5
; %bb.3:
	s_load_b32 s2, s[0:1], 0x90
	v_lshlrev_b64 v[3:4], 4, v[1:2]
	v_dual_mov_b32 v6, v2 :: v_dual_mov_b32 v5, v1
	v_mov_b32_e32 v1, v2
	s_delay_alu instid0(VALU_DEP_3) | instskip(NEXT) | instid1(VALU_DEP_4)
	v_add_co_u32 v7, vcc_lo, s4, v3
	v_add_co_ci_u32_e32 v8, vcc_lo, s5, v4, vcc_lo
	v_mov_b32_e32 v3, v2
	v_mov_b32_e32 v4, v2
	s_waitcnt lgkmcnt(0)
	s_lshl_b32 s2, s2, 8
	s_delay_alu instid0(SALU_CYCLE_1) | instskip(NEXT) | instid1(SALU_CYCLE_1)
	s_add_i32 s12, s2, 0xffffff00
	s_lshl_b64 s[4:5], s[12:13], 4
.LBB15_4:                               ; =>This Inner Loop Header: Depth=1
	v_add_co_u32 v5, vcc_lo, v5, s12
	v_add_co_ci_u32_e32 v6, vcc_lo, 0, v6, vcc_lo
	global_store_b128 v[7:8], v[1:4], off
	v_add_co_u32 v7, s2, v7, s4
	v_cmp_le_i64_e32 vcc_lo, s[10:11], v[5:6]
	v_add_co_ci_u32_e64 v8, s2, s5, v8, s2
	s_or_b32 s13, vcc_lo, s13
	s_delay_alu instid0(SALU_CYCLE_1)
	s_and_not1_b32 exec_lo, exec_lo, s13
	s_cbranch_execnz .LBB15_4
.LBB15_5:
	s_or_b32 exec_lo, exec_lo, s3
.LBB15_6:
	s_cbranch_execz .LBB15_8
	s_branch .LBB15_85
.LBB15_7:
.LBB15_8:
	s_clause 0x1
	s_load_b256 s[24:31], s[0:1], 0x64
	s_load_b128 s[12:15], s[0:1], 0x0
	s_waitcnt lgkmcnt(0)
	s_clause 0x1
	s_load_b64 s[10:11], s[0:1], 0x10
	s_load_b64 s[34:35], s[0:1], 0x84
	v_lshrrev_b32_e32 v1, 5, v0
	v_lshlrev_b32_e32 v7, 2, v0
	s_add_i32 s37, s9, 1
	s_delay_alu instid0(VALU_DEP_2) | instskip(SKIP_1) | instid1(SALU_CYCLE_1)
	v_readfirstlane_b32 s42, v1
	s_add_i32 s33, s24, -2
	s_mul_i32 s36, s33, s9
	s_delay_alu instid0(SALU_CYCLE_1) | instskip(NEXT) | instid1(VALU_DEP_1)
	v_cmp_gt_i32_e64 s0, s36, v0
	s_and_saveexec_b32 s38, s0
	s_cbranch_execz .LBB15_11
; %bb.9:
	s_lshl_b32 s1, s9, 3
	s_waitcnt lgkmcnt(0)
	v_mad_u64_u32 v[1:2], null, v0, s34, 0
	s_add_i32 s1, s1, 0
	v_dual_mov_b32 v4, 0 :: v_dual_mov_b32 v5, v0
	v_add3_u32 v3, s1, v7, 8
	s_mov_b32 s3, 0
	s_sub_i32 s4, s37, s31
	s_mov_b32 s2, s34
	s_lshl_b32 s39, s4, 2
	s_lshl_b64 s[4:5], s[2:3], 8
	.p2align	6
.LBB15_10:                              ; =>This Inner Loop Header: Depth=1
	v_add_nc_u32_e32 v6, v5, v2
	v_add_nc_u32_e32 v5, 0x100, v5
	v_add_co_u32 v1, vcc_lo, v1, s4
	v_add_co_ci_u32_e32 v2, vcc_lo, s5, v2, vcc_lo
	s_delay_alu instid0(VALU_DEP_4) | instskip(NEXT) | instid1(VALU_DEP_4)
	v_lshrrev_b32_e32 v6, s35, v6
	v_cmp_le_i32_e64 s1, s36, v5
	s_delay_alu instid0(VALU_DEP_2) | instskip(SKIP_1) | instid1(VALU_DEP_3)
	v_mad_u64_u32 v[8:9], null, s39, v6, v[3:4]
	v_add_nc_u32_e32 v3, 0x400, v3
	s_or_b32 s3, s1, s3
	ds_store_b32 v8, v4
	s_and_not1_b32 exec_lo, exec_lo, s3
	s_cbranch_execnz .LBB15_10
.LBB15_11:
	s_or_b32 exec_lo, exec_lo, s38
	s_lshl_b32 s1, s37, 3
	s_mul_i32 s39, s28, s33
	s_add_i32 s38, s1, 0
	v_cmp_gt_i32_e32 vcc_lo, s39, v0
	s_cmp_gt_i32 s8, 0
	s_mov_b32 s3, 0
	s_cselect_b32 s40, -1, 0
	s_cmp_lt_i32 s8, 1
	s_waitcnt lgkmcnt(0)
	s_waitcnt_vscnt null, 0x0
	s_barrier
	buffer_gl0_inv
	s_cbranch_scc1 .LBB15_19
; %bb.12:
	v_mad_u64_u32 v[1:2], null, v0, s29, 0
	v_mov_b32_e32 v4, 0
	s_mov_b32 s2, s29
	s_mov_b32 s41, 0
	s_lshl_b64 s[4:5], s[2:3], 8
	s_branch .LBB15_14
.LBB15_13:                              ;   in Loop: Header=BB15_14 Depth=1
	s_set_inst_prefetch_distance 0x2
	s_or_b32 exec_lo, exec_lo, s43
	s_add_i32 s41, s41, s33
	s_add_i32 s3, s3, s39
	s_cmp_ge_i32 s41, s8
	s_waitcnt lgkmcnt(0)
	s_barrier
	buffer_gl0_inv
	s_cbranch_scc1 .LBB15_19
.LBB15_14:                              ; =>This Loop Header: Depth=1
                                        ;     Child Loop BB15_17 Depth 2
	s_and_saveexec_b32 s43, vcc_lo
	s_cbranch_execz .LBB15_13
; %bb.15:                               ;   in Loop: Header=BB15_14 Depth=1
	v_dual_mov_b32 v6, v2 :: v_dual_mov_b32 v5, v1
	v_mov_b32_e32 v8, v0
	s_mov_b32 s44, 0
	s_set_inst_prefetch_distance 0x1
	s_branch .LBB15_17
	.p2align	6
.LBB15_16:                              ;   in Loop: Header=BB15_17 Depth=2
	s_or_b32 exec_lo, exec_lo, s2
	v_add_nc_u32_e32 v8, 0x100, v8
	v_add_co_u32 v5, s2, v5, s4
	s_delay_alu instid0(VALU_DEP_1) | instskip(NEXT) | instid1(VALU_DEP_3)
	v_add_co_ci_u32_e64 v6, s2, s5, v6, s2
	v_cmp_le_i32_e64 s1, s39, v8
	s_waitcnt vmcnt(48) lgkmcnt(7)
	s_delay_alu instid0(VALU_DEP_1) | instskip(NEXT) | instid1(SALU_CYCLE_1)
	s_or_b32 s44, s1, s44
	s_and_not1_b32 exec_lo, exec_lo, s44
	s_cbranch_execz .LBB15_13
.LBB15_17:                              ;   Parent Loop BB15_14 Depth=1
                                        ; =>  This Inner Loop Header: Depth=2
	s_delay_alu instid0(VALU_DEP_1) | instskip(SKIP_1) | instid1(VALU_DEP_1)
	v_add_nc_u32_e32 v3, v8, v6
	s_mov_b32 s2, exec_lo
	v_lshrrev_b32_e32 v9, s30, v3
	s_delay_alu instid0(VALU_DEP_1) | instskip(NEXT) | instid1(VALU_DEP_1)
	v_add_nc_u32_e32 v3, s41, v9
	v_cmpx_gt_i32_e64 s8, v3
	s_cbranch_execz .LBB15_16
; %bb.18:                               ;   in Loop: Header=BB15_17 Depth=2
	v_add_nc_u32_e32 v3, s3, v8
	v_mul_lo_u32 v9, v9, s37
	s_delay_alu instid0(VALU_DEP_2) | instskip(NEXT) | instid1(VALU_DEP_2)
	v_lshlrev_b64 v[10:11], 2, v[3:4]
	v_lshlrev_b32_e32 v9, 2, v9
	s_delay_alu instid0(VALU_DEP_2) | instskip(NEXT) | instid1(VALU_DEP_1)
	v_add_co_u32 v10, s1, s12, v10
	v_add_co_ci_u32_e64 v11, s1, s13, v11, s1
	global_load_b32 v3, v[10:11], off
	s_waitcnt vmcnt(0)
	v_lshlrev_b32_e32 v3, 2, v3
	s_delay_alu instid0(VALU_DEP_1)
	v_add3_u32 v3, s38, v3, v9
	ds_load_b32 v9, v3
	s_waitcnt lgkmcnt(0)
	v_add_nc_u32_e32 v9, 1, v9
	ds_store_b32 v3, v9
	s_branch .LBB15_16
.LBB15_19:
	s_mov_b32 s1, exec_lo
	v_cmpx_eq_u32_e32 0, v0
	s_cbranch_execz .LBB15_21
; %bb.20:
	v_mov_b32_e32 v1, 0
	ds_store_b32 v1, v1
.LBB15_21:
	s_or_b32 exec_lo, exec_lo, s1
	v_and_b32_e32 v9, 7, v0
	v_lshrrev_b32_e32 v10, 3, v0
	v_mbcnt_lo_u32_b32 v12, -1, 0
	s_mov_b32 s4, 0
	s_delay_alu instid0(VALU_DEP_3) | instskip(NEXT) | instid1(VALU_DEP_3)
	v_mul_lo_u32 v1, s37, v9
	v_cmp_gt_i32_e64 s1, s9, v10
	v_lshlrev_b32_e32 v11, 2, v10
	s_delay_alu instid0(VALU_DEP_3) | instskip(NEXT) | instid1(VALU_DEP_3)
	v_lshlrev_b32_e32 v8, 2, v1
	s_and_saveexec_b32 s3, s1
	s_cbranch_execz .LBB15_29
; %bb.22:
	s_cmp_gt_i32 s24, 2
	s_mul_i32 s2, s9, 40
	s_cselect_b32 s5, -1, 0
	s_lshl_b32 s24, s9, 3
	v_dual_mov_b32 v6, v10 :: v_dual_lshlrev_b32 v3, 2, v12
	v_add3_u32 v4, v8, s2, v11
	v_add3_u32 v5, v8, s24, v11
	v_cmp_eq_u32_e64 s2, 0, v9
	s_delay_alu instid0(VALU_DEP_4)
	v_xor_b32_e32 v1, 4, v3
	v_xor_b32_e32 v2, 8, v3
	v_xor_b32_e32 v3, 16, v3
	v_add3_u32 v4, v4, 0, 40
	v_add3_u32 v5, v5, 0, 8
	s_lshl_b32 s24, s9, 6
	s_delay_alu instid0(SALU_CYCLE_1)
	s_add_i32 s24, s24, 64
	s_branch .LBB15_24
.LBB15_23:                              ;   in Loop: Header=BB15_24 Depth=1
	s_or_b32 exec_lo, exec_lo, s41
	v_add_nc_u32_e32 v6, 32, v6
	v_add_nc_u32_e32 v4, 0x80, v4
	;; [unrolled: 1-line block ×3, first 2 shown]
	s_delay_alu instid0(VALU_DEP_3) | instskip(SKIP_1) | instid1(SALU_CYCLE_1)
	v_cmp_le_i32_e32 vcc_lo, s9, v6
	s_or_b32 s4, vcc_lo, s4
	s_and_not1_b32 exec_lo, exec_lo, s4
	s_cbranch_execz .LBB15_29
.LBB15_24:                              ; =>This Loop Header: Depth=1
                                        ;     Child Loop BB15_26 Depth 2
	v_mov_b32_e32 v13, 0
	s_and_not1_b32 vcc_lo, exec_lo, s5
	s_cbranch_vccnz .LBB15_27
; %bb.25:                               ;   in Loop: Header=BB15_24 Depth=1
	v_mov_b32_e32 v13, 0
	s_mov_b32 s41, 0
	s_mov_b32 s43, 0
	.p2align	6
.LBB15_26:                              ;   Parent Loop BB15_24 Depth=1
                                        ; =>  This Inner Loop Header: Depth=2
	v_add_nc_u32_e32 v14, s41, v5
	v_add_nc_u32_e32 v15, s41, v4
	s_add_i32 s43, s43, 16
	s_add_i32 s41, s41, s24
	s_cmp_lt_i32 s43, s33
	ds_load_b32 v14, v14
	ds_load_b32 v15, v15
	s_waitcnt lgkmcnt(1)
	ds_bpermute_b32 v16, v1, v14
	s_waitcnt lgkmcnt(1)
	ds_bpermute_b32 v17, v1, v15
	s_waitcnt lgkmcnt(1)
	v_add_nc_u32_e32 v14, v16, v14
	s_waitcnt lgkmcnt(0)
	v_add_nc_u32_e32 v15, v17, v15
	ds_bpermute_b32 v16, v2, v14
	ds_bpermute_b32 v17, v2, v15
	s_waitcnt lgkmcnt(1)
	v_add_nc_u32_e32 v14, v16, v14
	s_waitcnt lgkmcnt(0)
	v_add_nc_u32_e32 v15, v17, v15
	ds_bpermute_b32 v16, v3, v14
	ds_bpermute_b32 v17, v3, v15
	s_waitcnt lgkmcnt(1)
	v_add3_u32 v13, v14, v13, v16
	s_waitcnt lgkmcnt(0)
	s_delay_alu instid0(VALU_DEP_1)
	v_add3_u32 v13, v13, v15, v17
	s_cbranch_scc1 .LBB15_26
.LBB15_27:                              ;   in Loop: Header=BB15_24 Depth=1
	s_and_saveexec_b32 s41, s2
	s_cbranch_execz .LBB15_23
; %bb.28:                               ;   in Loop: Header=BB15_24 Depth=1
	v_lshl_add_u32 v14, v6, 2, 0
	ds_store_b32 v14, v13 offset:4
	s_branch .LBB15_23
.LBB15_29:
	s_or_b32 exec_lo, exec_lo, s3
	s_lshl_b32 s5, s9, 2
	v_cmp_gt_i32_e64 s2, s9, v0
	s_add_i32 s41, s5, 0
	s_delay_alu instid0(SALU_CYCLE_1)
	v_dual_mov_b32 v1, 0 :: v_dual_mov_b32 v2, s41
	s_mov_b32 s4, 0
	ds_store_b32 v2, v1 offset:4
	s_and_saveexec_b32 s24, s2
	s_cbranch_execz .LBB15_32
; %bb.30:
	v_add_co_u32 v1, s3, s10, v7
	v_add3_u32 v3, s41, v7, 8
	v_add_co_ci_u32_e64 v2, null, s11, 0, s3
	v_mov_b32_e32 v4, v0
	.p2align	6
.LBB15_31:                              ; =>This Inner Loop Header: Depth=1
	global_load_b32 v5, v[1:2], off
	v_add_nc_u32_e32 v4, 0x100, v4
	v_add_co_u32 v1, vcc_lo, 0x400, v1
	v_add_co_ci_u32_e32 v2, vcc_lo, 0, v2, vcc_lo
	s_delay_alu instid0(VALU_DEP_3) | instskip(NEXT) | instid1(VALU_DEP_1)
	v_cmp_le_i32_e64 s3, s9, v4
	s_or_b32 s4, s3, s4
	s_waitcnt vmcnt(0)
	ds_store_b32 v3, v5
	v_add_nc_u32_e32 v3, 0x400, v3
	s_and_not1_b32 exec_lo, exec_lo, s4
	s_cbranch_execnz .LBB15_31
.LBB15_32:
	s_or_b32 exec_lo, exec_lo, s24
	s_add_i32 s24, s41, 4
	s_cmp_lg_u32 s42, 0
	s_mov_b32 s42, 0
	s_waitcnt lgkmcnt(0)
	s_barrier
	buffer_gl0_inv
	s_cbranch_scc1 .LBB15_43
; %bb.33:
	v_mov_b32_e32 v1, 0
	s_cmp_lt_i32 s9, 1
	s_cbranch_scc1 .LBB15_40
; %bb.34:
	v_lshlrev_b32_e32 v1, 2, v12
	v_cmp_eq_u32_e32 vcc_lo, 0, v12
	v_cmp_lt_u32_e64 s3, 15, v12
	s_add_i32 s43, s25, -1
	s_delay_alu instid0(VALU_DEP_3) | instskip(SKIP_1) | instid1(VALU_DEP_2)
	v_and_b32_e32 v2, 64, v1
	v_add_nc_u32_e32 v3, 0, v1
	v_add_nc_u32_e32 v2, -4, v2
	s_branch .LBB15_36
.LBB15_35:                              ;   in Loop: Header=BB15_36 Depth=1
	s_or_b32 exec_lo, exec_lo, s44
	v_add_nc_u32_e32 v3, 0x80, v3
	s_add_i32 s42, s42, 32
	s_waitcnt vmcnt(48) lgkmcnt(7)
	s_cmp_lt_i32 s42, s9
	s_cbranch_scc0 .LBB15_40
.LBB15_36:                              ; =>This Inner Loop Header: Depth=1
	ds_load_b32 v1, v3 offset:4
	v_add_nc_u32_e32 v4, s5, v3
	s_waitcnt lgkmcnt(1)
	v_cndmask_b32_e64 v6, 0, s42, vcc_lo
	ds_load_b32 v5, v4 offset:8
	v_lshlrev_b32_e32 v6, 2, v6
	s_delay_alu instid0(VALU_DEP_1) | instskip(SKIP_4) | instid1(VALU_DEP_1)
	v_add_nc_u32_e32 v14, 0, v6
	v_add_nc_u32_e32 v6, s24, v6
	ds_load_b32 v6, v6
	s_waitcnt lgkmcnt(2)
	v_add_nc_u32_e32 v1, s43, v1
	v_mul_hi_u32 v13, v1, s26
	s_waitcnt lgkmcnt(1)
	v_cmp_ne_u32_e64 s4, 0, v5
	s_delay_alu instid0(VALU_DEP_2) | instskip(SKIP_3) | instid1(VALU_DEP_1)
	v_add_nc_u32_e32 v1, v1, v13
	ds_load_b32 v13, v14
	v_add_nc_u32_e32 v14, s42, v12
	v_lshrrev_b32_e32 v1, s27, v1
	v_mul_lo_u32 v1, v1, s25
	s_delay_alu instid0(VALU_DEP_1) | instskip(NEXT) | instid1(VALU_DEP_4)
	v_cndmask_b32_e64 v1, 0, v1, s4
	v_cmp_gt_i32_e64 s4, s9, v14
	s_waitcnt lgkmcnt(0)
	s_delay_alu instid0(VALU_DEP_2) | instskip(NEXT) | instid1(VALU_DEP_1)
	v_add_nc_u32_e32 v1, v1, v13
	v_add_nc_u32_dpp v1, v1, v1 row_shr:1 row_mask:0xf bank_mask:0xf bound_ctrl:1
	s_delay_alu instid0(VALU_DEP_1) | instskip(NEXT) | instid1(VALU_DEP_1)
	v_add_nc_u32_dpp v1, v1, v1 row_shr:2 row_mask:0xf bank_mask:0xf bound_ctrl:1
	v_add_nc_u32_dpp v1, v1, v1 row_shr:4 row_mask:0xf bank_mask:0xf bound_ctrl:1
	s_delay_alu instid0(VALU_DEP_1) | instskip(SKIP_3) | instid1(VALU_DEP_1)
	v_add_nc_u32_dpp v1, v1, v1 row_shr:8 row_mask:0xf bank_mask:0xf bound_ctrl:1
	ds_bpermute_b32 v13, v2, v1
	s_waitcnt lgkmcnt(0)
	v_cndmask_b32_e64 v13, 0, v13, s3
	v_add_nc_u32_e32 v1, v1, v13
	s_and_saveexec_b32 s44, s4
	s_cbranch_execz .LBB15_38
; %bb.37:                               ;   in Loop: Header=BB15_36 Depth=1
	ds_store_b32 v3, v1 offset:4
.LBB15_38:                              ;   in Loop: Header=BB15_36 Depth=1
	s_or_b32 exec_lo, exec_lo, s44
	v_add_nc_u32_e32 v5, v5, v6
	s_delay_alu instid0(VALU_DEP_1) | instskip(NEXT) | instid1(VALU_DEP_1)
	v_add_nc_u32_dpp v5, v5, v5 row_shr:1 row_mask:0xf bank_mask:0xf bound_ctrl:1
	v_add_nc_u32_dpp v5, v5, v5 row_shr:2 row_mask:0xf bank_mask:0xf bound_ctrl:1
	s_delay_alu instid0(VALU_DEP_1) | instskip(NEXT) | instid1(VALU_DEP_1)
	v_add_nc_u32_dpp v5, v5, v5 row_shr:4 row_mask:0xf bank_mask:0xf bound_ctrl:1
	v_add_nc_u32_dpp v5, v5, v5 row_shr:8 row_mask:0xf bank_mask:0xf bound_ctrl:1
	ds_bpermute_b32 v6, v2, v5
	s_and_saveexec_b32 s44, s4
	s_cbranch_execz .LBB15_35
; %bb.39:                               ;   in Loop: Header=BB15_36 Depth=1
	s_waitcnt lgkmcnt(0)
	v_cndmask_b32_e64 v6, 0, v6, s3
	s_delay_alu instid0(VALU_DEP_1)
	v_add_nc_u32_e32 v5, v6, v5
	ds_store_b32 v4, v5 offset:8
	s_branch .LBB15_35
.LBB15_40:
	v_add3_u32 v2, v12, s42, 0xffffffe1
	s_mov_b32 s3, exec_lo
	s_delay_alu instid0(VALU_DEP_1)
	v_cmpx_eq_u32_e64 s9, v2
	s_cbranch_execz .LBB15_42
; %bb.41:
	v_dual_mov_b32 v3, 0 :: v_dual_mov_b32 v2, s8
	global_store_b64 v3, v[1:2], s[22:23]
.LBB15_42:
	s_or_b32 exec_lo, exec_lo, s3
.LBB15_43:
	s_cmp_eq_u64 s[6:7], 0
	s_waitcnt lgkmcnt(0)
	s_waitcnt_vscnt null, 0x0
	s_barrier
	buffer_gl0_inv
	s_cbranch_scc1 .LBB15_50
; %bb.44:
	s_mul_i32 s4, s28, s8
	s_mov_b32 s22, exec_lo
	v_cmpx_gt_i32_e64 s4, v0
	s_cbranch_execz .LBB15_49
; %bb.45:
	v_add_co_u32 v1, s3, s12, v7
	s_delay_alu instid0(VALU_DEP_1) | instskip(SKIP_1) | instid1(VALU_DEP_1)
	v_add_co_ci_u32_e64 v2, null, s13, 0, s3
	v_add_co_u32 v3, s3, s6, v7
	v_add_co_ci_u32_e64 v4, null, s7, 0, s3
	v_mov_b32_e32 v13, v0
	s_mov_b32 s6, 0
	s_set_inst_prefetch_distance 0x1
	s_branch .LBB15_47
	.p2align	6
.LBB15_46:                              ;   in Loop: Header=BB15_47 Depth=1
	s_or_b32 exec_lo, exec_lo, s3
	v_add_nc_u32_e32 v13, 0x100, v13
	v_add_co_u32 v1, vcc_lo, 0x400, v1
	v_add_co_ci_u32_e32 v2, vcc_lo, 0, v2, vcc_lo
	s_waitcnt lgkmcnt(0)
	global_store_b32 v[3:4], v6, off
	v_cmp_le_i32_e32 vcc_lo, s4, v13
	v_add_co_u32 v3, s3, 0x400, v3
	s_delay_alu instid0(VALU_DEP_1) | instskip(SKIP_1) | instid1(SALU_CYCLE_1)
	v_add_co_ci_u32_e64 v4, s3, 0, v4, s3
	s_or_b32 s6, vcc_lo, s6
	s_and_not1_b32 exec_lo, exec_lo, s6
	s_cbranch_execz .LBB15_49
.LBB15_47:                              ; =>This Inner Loop Header: Depth=1
	global_load_b32 v5, v[1:2], off
	s_waitcnt vmcnt(0)
	v_ashrrev_i32_e32 v6, 31, v5
	s_delay_alu instid0(VALU_DEP_1) | instskip(NEXT) | instid1(VALU_DEP_1)
	v_lshlrev_b64 v[14:15], 2, v[5:6]
	v_add_co_u32 v14, vcc_lo, s10, v14
	s_delay_alu instid0(VALU_DEP_2)
	v_add_co_ci_u32_e32 v15, vcc_lo, s11, v15, vcc_lo
	global_load_b32 v6, v[14:15], off
	s_waitcnt vmcnt(0)
	v_cmp_ne_u32_e32 vcc_lo, 0, v6
	v_mov_b32_e32 v6, -1
	s_and_saveexec_b32 s3, vcc_lo
	s_cbranch_execz .LBB15_46
; %bb.48:                               ;   in Loop: Header=BB15_47 Depth=1
	v_lshl_add_u32 v5, v5, 2, s24
	ds_load_b32 v6, v5
	s_branch .LBB15_46
.LBB15_49:
	s_set_inst_prefetch_distance 0x2
	s_or_b32 exec_lo, exec_lo, s22
	s_waitcnt_vscnt null, 0x0
	s_barrier
	buffer_gl0_inv
.LBB15_50:
	s_and_saveexec_b32 s4, s2
	s_cbranch_execz .LBB15_57
; %bb.51:
	v_dual_mov_b32 v2, 0 :: v_dual_mov_b32 v3, v0
	s_mov_b32 s6, 0
	s_branch .LBB15_53
.LBB15_52:                              ;   in Loop: Header=BB15_53 Depth=1
	s_or_b32 exec_lo, exec_lo, s7
	v_add_nc_u32_e32 v3, 0x100, v3
	s_delay_alu instid0(VALU_DEP_1) | instskip(SKIP_1) | instid1(SALU_CYCLE_1)
	v_cmp_le_i32_e32 vcc_lo, s9, v3
	s_or_b32 s6, vcc_lo, s6
	s_and_not1_b32 exec_lo, exec_lo, s6
	s_cbranch_execz .LBB15_57
.LBB15_53:                              ; =>This Loop Header: Depth=1
                                        ;     Child Loop BB15_56 Depth 2
	s_delay_alu instid0(VALU_DEP_1) | instskip(SKIP_1) | instid1(VALU_DEP_1)
	v_lshlrev_b32_e32 v1, 2, v3
	s_mov_b32 s7, exec_lo
	v_add_nc_u32_e32 v4, 0, v1
	v_add_nc_u32_e32 v1, s24, v1
	ds_load_2addr_b32 v[5:6], v4 offset1:1
	s_waitcnt lgkmcnt(2)
	ds_load_b32 v13, v1
	s_waitcnt lgkmcnt(1)
	ds_store_b32 v1, v5
	v_cmpx_ne_u32_e64 v5, v6
	s_cbranch_execz .LBB15_52
; %bb.54:                               ;   in Loop: Header=BB15_53 Depth=1
	v_mov_b32_e32 v4, v2
	v_cmp_lt_i32_e64 s3, v5, v6
	s_delay_alu instid0(VALU_DEP_2) | instskip(NEXT) | instid1(VALU_DEP_1)
	v_lshlrev_b64 v[14:15], 2, v[3:4]
	v_add_co_u32 v14, vcc_lo, s10, v14
	s_delay_alu instid0(VALU_DEP_2) | instskip(SKIP_4) | instid1(SALU_CYCLE_1)
	v_add_co_ci_u32_e32 v15, vcc_lo, s11, v15, vcc_lo
	global_load_b32 v1, v[14:15], off
	s_waitcnt vmcnt(0)
	v_cmp_ne_u32_e32 vcc_lo, 0, v1
	s_and_b32 s3, s3, vcc_lo
	s_and_b32 exec_lo, exec_lo, s3
	s_cbranch_execz .LBB15_52
; %bb.55:                               ;   in Loop: Header=BB15_53 Depth=1
	s_mov_b32 s22, 0
	.p2align	6
.LBB15_56:                              ;   Parent Loop BB15_53 Depth=1
                                        ; =>  This Inner Loop Header: Depth=2
	v_mul_hi_u32 v1, s26, v5
	s_delay_alu instid0(VALU_DEP_1) | instskip(SKIP_1) | instid1(VALU_DEP_2)
	v_add_nc_u32_e32 v1, v5, v1
	v_add_nc_u32_e32 v5, s25, v5
	v_lshrrev_b32_e32 v1, s27, v1
	s_delay_alu instid0(VALU_DEP_2) | instskip(NEXT) | instid1(VALU_DEP_2)
	v_cmp_ge_i32_e32 vcc_lo, v5, v6
	v_lshlrev_b64 v[14:15], 2, v[1:2]
	s_or_b32 s22, vcc_lo, s22
	s_delay_alu instid0(VALU_DEP_1) | instskip(NEXT) | instid1(VALU_DEP_1)
	v_add_co_u32 v14, s3, s20, v14
	v_add_co_ci_u32_e64 v15, s3, s21, v15, s3
	s_waitcnt lgkmcnt(1)
	global_store_b32 v[14:15], v13, off
	s_and_not1_b32 exec_lo, exec_lo, s22
	s_cbranch_execnz .LBB15_56
	s_branch .LBB15_52
.LBB15_57:
	s_or_b32 exec_lo, exec_lo, s4
	s_add_i32 s3, s41, s5
	s_delay_alu instid0(SALU_CYCLE_1)
	v_dual_mov_b32 v1, s41 :: v_dual_mov_b32 v2, s3
	s_waitcnt lgkmcnt(0)
	s_waitcnt_vscnt null, 0x0
	s_barrier
	buffer_gl0_inv
	ds_load_b32 v1, v1
	s_and_not1_b32 vcc_lo, exec_lo, s40
	s_waitcnt lgkmcnt(0)
	ds_store_b32 v2, v1 offset:4
	s_cbranch_vccnz .LBB15_79
; %bb.58:
	s_sub_i32 s5, s37, s31
	s_add_u32 s22, s16, -4
	s_addc_u32 s23, s17, -1
	s_add_u32 s25, s14, -4
	s_addc_u32 s26, s15, -1
	v_dual_mov_b32 v6, 0 :: v_dual_and_b32 v1, 8, v12
	s_add_u32 s27, s18, -4
	s_addc_u32 s31, s19, -1
	s_lshl_b32 s41, s9, 3
	s_delay_alu instid0(VALU_DEP_1)
	v_cmp_eq_u32_e64 s4, 0, v1
	v_add3_u32 v5, v8, s41, v11
	v_mad_u64_u32 v[1:2], null, v0, s34, 0
	v_mad_u64_u32 v[3:4], null, v0, s29, 0
	v_mul_lo_u32 v11, s28, v9
	s_add_i32 s14, s41, 0
	s_mov_b32 s7, 0
	v_cmp_gt_i32_e32 vcc_lo, s39, v0
	v_cmp_gt_i32_e64 s3, s33, v9
	v_or_b32_e32 v12, 28, v7
	v_add3_u32 v13, s14, v7, 8
	v_add3_u32 v14, v5, 0, 8
	s_mov_b32 s6, s34
	s_mov_b32 s20, s29
	s_mov_b32 s21, s7
	s_lshl_b32 s41, s9, 5
	s_lshl_b32 s40, s5, 2
	s_lshl_b64 s[14:15], s[6:7], 8
	s_sub_i32 s34, 0, s28
	s_lshl_b64 s[20:21], s[20:21], 8
	s_lshl_b32 s29, s28, 3
	s_add_i32 s41, s41, 32
	s_mov_b32 s42, s7
	s_branch .LBB15_60
.LBB15_59:                              ;   in Loop: Header=BB15_60 Depth=1
	s_or_b32 exec_lo, exec_lo, s43
	v_add_nc_u32_e32 v11, s39, v11
	s_add_i32 s42, s42, s33
	s_add_i32 s7, s7, s39
	s_cmp_ge_i32 s42, s8
	s_waitcnt lgkmcnt(0)
	s_waitcnt_vscnt null, 0x0
	s_barrier
	buffer_gl0_inv
	s_cbranch_scc1 .LBB15_79
.LBB15_60:                              ; =>This Loop Header: Depth=1
                                        ;     Child Loop BB15_62 Depth 2
                                        ;     Child Loop BB15_66 Depth 2
	;; [unrolled: 1-line block ×3, first 2 shown]
                                        ;       Child Loop BB15_77 Depth 3
	s_and_saveexec_b32 s43, s0
	s_cbranch_execz .LBB15_63
; %bb.61:                               ;   in Loop: Header=BB15_60 Depth=1
	v_dual_mov_b32 v8, v2 :: v_dual_mov_b32 v7, v1
	v_mov_b32_e32 v5, v13
	v_mov_b32_e32 v15, v0
	s_mov_b32 s44, 0
	.p2align	6
.LBB15_62:                              ;   Parent Loop BB15_60 Depth=1
                                        ; =>  This Inner Loop Header: Depth=2
	s_delay_alu instid0(VALU_DEP_1) | instskip(SKIP_2) | instid1(VALU_DEP_1)
	v_add_nc_u32_e32 v16, v15, v8
	v_add_nc_u32_e32 v15, 0x100, v15
	v_add_co_u32 v7, s5, v7, s14
	v_add_co_ci_u32_e64 v8, s5, s15, v8, s5
	s_delay_alu instid0(VALU_DEP_4) | instskip(NEXT) | instid1(VALU_DEP_4)
	v_lshrrev_b32_e32 v18, s35, v16
	v_cmp_le_i32_e64 s6, s36, v15
	s_delay_alu instid0(VALU_DEP_2) | instskip(SKIP_1) | instid1(VALU_DEP_3)
	v_mad_u64_u32 v[16:17], null, s40, v18, v[5:6]
	v_add_nc_u32_e32 v5, 0x400, v5
	s_or_b32 s44, s6, s44
	ds_store_b32 v16, v6
	s_and_not1_b32 exec_lo, exec_lo, s44
	s_cbranch_execnz .LBB15_62
.LBB15_63:                              ;   in Loop: Header=BB15_60 Depth=1
	s_or_b32 exec_lo, exec_lo, s43
	s_waitcnt lgkmcnt(0)
	s_barrier
	buffer_gl0_inv
	s_and_saveexec_b32 s43, vcc_lo
	s_cbranch_execz .LBB15_68
; %bb.64:                               ;   in Loop: Header=BB15_60 Depth=1
	v_dual_mov_b32 v8, v4 :: v_dual_mov_b32 v7, v3
	v_mov_b32_e32 v5, v0
	s_mov_b32 s44, 0
	s_set_inst_prefetch_distance 0x1
	s_branch .LBB15_66
	.p2align	6
.LBB15_65:                              ;   in Loop: Header=BB15_66 Depth=2
	s_or_b32 exec_lo, exec_lo, s6
	v_add_nc_u32_e32 v5, 0x100, v5
	v_add_co_u32 v7, s6, v7, s20
	s_delay_alu instid0(VALU_DEP_1) | instskip(NEXT) | instid1(VALU_DEP_3)
	v_add_co_ci_u32_e64 v8, s6, s21, v8, s6
	v_cmp_le_i32_e64 s5, s39, v5
	s_delay_alu instid0(VALU_DEP_1) | instskip(NEXT) | instid1(SALU_CYCLE_1)
	s_or_b32 s44, s5, s44
	s_and_not1_b32 exec_lo, exec_lo, s44
	s_cbranch_execz .LBB15_68
.LBB15_66:                              ;   Parent Loop BB15_60 Depth=1
                                        ; =>  This Inner Loop Header: Depth=2
	s_delay_alu instid0(VALU_DEP_1) | instskip(SKIP_1) | instid1(VALU_DEP_1)
	v_add_nc_u32_e32 v15, v5, v8
	s_mov_b32 s6, exec_lo
	v_lshrrev_b32_e32 v15, s30, v15
	s_delay_alu instid0(VALU_DEP_1) | instskip(NEXT) | instid1(VALU_DEP_1)
	v_add_nc_u32_e32 v16, s42, v15
	v_cmpx_gt_i32_e64 s8, v16
	s_cbranch_execz .LBB15_65
; %bb.67:                               ;   in Loop: Header=BB15_66 Depth=2
	v_add_nc_u32_e32 v16, s7, v5
	s_delay_alu instid0(VALU_DEP_1) | instskip(NEXT) | instid1(VALU_DEP_1)
	v_ashrrev_i32_e32 v17, 31, v16
	v_lshlrev_b64 v[16:17], 2, v[16:17]
	s_delay_alu instid0(VALU_DEP_1) | instskip(NEXT) | instid1(VALU_DEP_1)
	v_add_co_u32 v16, s5, s12, v16
	v_add_co_ci_u32_e64 v17, s5, s13, v17, s5
	global_load_b32 v16, v[16:17], off
	v_mul_lo_u32 v17, v15, s37
	v_mul_lo_u32 v15, s34, v15
	s_delay_alu instid0(VALU_DEP_2) | instskip(NEXT) | instid1(VALU_DEP_2)
	v_lshlrev_b32_e32 v17, 2, v17
	v_add3_u32 v15, v5, v15, 1
	s_waitcnt vmcnt(0)
	v_lshlrev_b32_e32 v16, 2, v16
	s_delay_alu instid0(VALU_DEP_1)
	v_add3_u32 v16, s38, v16, v17
	ds_store_b32 v16, v15
	s_branch .LBB15_65
.LBB15_68:                              ;   in Loop: Header=BB15_60 Depth=1
	s_set_inst_prefetch_distance 0x2
	s_or_b32 exec_lo, exec_lo, s43
	s_waitcnt lgkmcnt(0)
	s_barrier
	buffer_gl0_inv
	s_and_saveexec_b32 s43, s1
	s_cbranch_execz .LBB15_59
; %bb.69:                               ;   in Loop: Header=BB15_60 Depth=1
	v_mov_b32_e32 v7, v14
	v_mov_b32_e32 v5, v10
	s_mov_b32 s44, 0
	s_branch .LBB15_73
.LBB15_70:                              ;   in Loop: Header=BB15_73 Depth=2
	s_or_b32 exec_lo, exec_lo, s47
.LBB15_71:                              ;   in Loop: Header=BB15_73 Depth=2
	s_delay_alu instid0(SALU_CYCLE_1)
	s_or_b32 exec_lo, exec_lo, s46
	s_waitcnt lgkmcnt(0)
	ds_store_b32 v8, v15
.LBB15_72:                              ;   in Loop: Header=BB15_73 Depth=2
	s_or_b32 exec_lo, exec_lo, s45
	v_add_nc_u32_e32 v5, 32, v5
	v_add_nc_u32_e32 v7, 0x80, v7
	s_delay_alu instid0(VALU_DEP_2) | instskip(NEXT) | instid1(VALU_DEP_1)
	v_cmp_le_i32_e64 s5, s9, v5
	s_or_b32 s44, s5, s44
	s_delay_alu instid0(SALU_CYCLE_1)
	s_and_not1_b32 exec_lo, exec_lo, s44
	s_cbranch_execz .LBB15_59
.LBB15_73:                              ;   Parent Loop BB15_60 Depth=1
                                        ; =>  This Loop Header: Depth=2
                                        ;       Child Loop BB15_77 Depth 3
	s_delay_alu instid0(VALU_DEP_1) | instskip(SKIP_1) | instid1(VALU_DEP_1)
	v_lshlrev_b64 v[15:16], 2, v[5:6]
	s_mov_b32 s45, exec_lo
	v_add_co_u32 v15, s5, s10, v15
	s_delay_alu instid0(VALU_DEP_1)
	v_add_co_ci_u32_e64 v16, s5, s11, v16, s5
	global_load_b32 v8, v[15:16], off
	s_waitcnt vmcnt(0)
	v_cmpx_ne_u32_e32 0, v8
	s_cbranch_execz .LBB15_72
; %bb.74:                               ;   in Loop: Header=BB15_73 Depth=2
	v_lshl_add_u32 v8, v5, 2, 0
	ds_load_b32 v15, v8
	s_and_saveexec_b32 s46, s3
	s_cbranch_execz .LBB15_71
; %bb.75:                               ;   in Loop: Header=BB15_73 Depth=2
	v_mov_b32_e32 v16, v7
	v_dual_mov_b32 v17, v11 :: v_dual_mov_b32 v18, v9
	s_mov_b32 s47, 0
	s_branch .LBB15_77
.LBB15_76:                              ;   in Loop: Header=BB15_77 Depth=3
	s_or_b32 exec_lo, exec_lo, s6
	ds_bpermute_b32 v19, v12, v19
	v_add_nc_u32_e32 v18, 8, v18
	v_add_nc_u32_e32 v17, s29, v17
	;; [unrolled: 1-line block ×3, first 2 shown]
	s_delay_alu instid0(VALU_DEP_3) | instskip(NEXT) | instid1(VALU_DEP_1)
	v_cmp_le_i32_e64 s5, s33, v18
	s_or_b32 s47, s5, s47
	s_waitcnt lgkmcnt(0)
	v_add_nc_u32_e32 v15, v19, v15
	s_and_not1_b32 exec_lo, exec_lo, s47
	s_cbranch_execz .LBB15_70
.LBB15_77:                              ;   Parent Loop BB15_60 Depth=1
                                        ;     Parent Loop BB15_73 Depth=2
                                        ; =>    This Inner Loop Header: Depth=3
	ds_load_b32 v20, v16
	s_waitcnt lgkmcnt(0)
	v_cmp_ne_u32_e64 s5, 0, v20
	s_delay_alu instid0(VALU_DEP_1) | instskip(NEXT) | instid1(VALU_DEP_1)
	v_cndmask_b32_e64 v19, 0, 1, s5
	v_mov_b32_dpp v19, v19 row_shr:1 row_mask:0xf bank_mask:0xf bound_ctrl:1
	s_delay_alu instid0(VALU_DEP_1) | instskip(NEXT) | instid1(VALU_DEP_1)
	v_add_co_ci_u32_e64 v21, s6, 0, v19, s5
	v_mov_b32_dpp v21, v21 row_shr:2 row_mask:0xf bank_mask:0xf bound_ctrl:1
	s_delay_alu instid0(VALU_DEP_1) | instskip(NEXT) | instid1(VALU_DEP_1)
	v_add_co_ci_u32_e64 v19, s6, v21, v19, s5
	v_add_nc_u32_dpp v19, v19, v19 row_shr:4 row_mask:0xf bank_mask:0xf bound_ctrl:1
	s_delay_alu instid0(VALU_DEP_1) | instskip(NEXT) | instid1(VALU_DEP_1)
	v_add_nc_u32_dpp v19, v19, v19 row_shr:8 row_mask:0xf bank_mask:0xf bound_ctrl:1
	v_mov_b32_dpp v21, v19 row_share:7 row_mask:0xf bank_mask:0xf bound_ctrl:1
	s_delay_alu instid0(VALU_DEP_1) | instskip(NEXT) | instid1(VALU_DEP_1)
	v_cndmask_b32_e64 v21, v21, 0, s4
	v_sub_nc_u32_e32 v19, v19, v21
	s_and_saveexec_b32 s6, s5
	s_cbranch_execz .LBB15_76
; %bb.78:                               ;   in Loop: Header=BB15_77 Depth=3
	v_add_nc_u32_e32 v21, v17, v20
	v_add_nc_u32_e32 v23, s42, v18
	s_delay_alu instid0(VALU_DEP_2) | instskip(NEXT) | instid1(VALU_DEP_2)
	v_ashrrev_i32_e32 v22, 31, v21
	v_perm_b32 v23, v20, v23, 0x4020100
	s_delay_alu instid0(VALU_DEP_2) | instskip(NEXT) | instid1(VALU_DEP_2)
	v_lshlrev_b64 v[21:22], 2, v[21:22]
	v_add_nc_u32_e32 v25, 0xff000000, v23
	s_delay_alu instid0(VALU_DEP_2) | instskip(NEXT) | instid1(VALU_DEP_1)
	v_add_co_u32 v21, s5, s25, v21
	v_add_co_ci_u32_e64 v22, s5, s26, v22, s5
	global_load_b32 v24, v[21:22], off
	v_add_nc_u32_e32 v21, v19, v15
	s_delay_alu instid0(VALU_DEP_1) | instskip(NEXT) | instid1(VALU_DEP_1)
	v_ashrrev_i32_e32 v22, 31, v21
	v_lshlrev_b64 v[20:21], 2, v[21:22]
	s_delay_alu instid0(VALU_DEP_1) | instskip(NEXT) | instid1(VALU_DEP_1)
	v_add_co_u32 v22, s5, s22, v20
	v_add_co_ci_u32_e64 v23, s5, s23, v21, s5
	v_add_co_u32 v20, s5, s27, v20
	s_delay_alu instid0(VALU_DEP_1)
	v_add_co_ci_u32_e64 v21, s5, s31, v21, s5
	global_store_b32 v[22:23], v25, off
	s_waitcnt vmcnt(0)
	global_store_b32 v[20:21], v24, off
	s_branch .LBB15_76
.LBB15_79:
	s_and_saveexec_b32 s0, s2
	s_cbranch_execz .LBB15_85
; %bb.80:
	v_mov_b32_e32 v6, 0
	s_and_b32 s0, s8, 0xffffff
	s_lshl_b32 s1, s28, 24
	s_add_i32 s24, s24, 4
	s_or_b32 s1, s1, s0
	s_mov_b32 s2, 0
	s_set_inst_prefetch_distance 0x1
	s_branch .LBB15_82
	.p2align	6
.LBB15_81:                              ;   in Loop: Header=BB15_82 Depth=1
	s_or_b32 exec_lo, exec_lo, s3
	v_add_nc_u32_e32 v0, 0x100, v0
	s_delay_alu instid0(VALU_DEP_1) | instskip(SKIP_1) | instid1(SALU_CYCLE_1)
	v_cmp_le_i32_e32 vcc_lo, s9, v0
	s_or_b32 s2, vcc_lo, s2
	s_and_not1_b32 exec_lo, exec_lo, s2
	s_cbranch_execz .LBB15_85
.LBB15_82:                              ; =>This Loop Header: Depth=1
                                        ;     Child Loop BB15_84 Depth 2
	v_lshlrev_b32_e32 v1, 2, v0
	s_mov_b32 s3, exec_lo
	s_delay_alu instid0(VALU_DEP_1)
	v_add_nc_u32_e32 v2, 0, v1
	v_add_nc_u32_e32 v3, s24, v1
	ds_load_b32 v1, v2
	ds_load_b32 v7, v3
	s_waitcnt lgkmcnt(0)
	v_cmpx_lt_i32_e64 v1, v7
	s_cbranch_execz .LBB15_81
; %bb.83:                               ;   in Loop: Header=BB15_82 Depth=1
	v_ashrrev_i32_e32 v2, 31, v1
	s_mov_b32 s4, 0
	s_delay_alu instid0(VALU_DEP_1) | instskip(NEXT) | instid1(VALU_DEP_1)
	v_lshlrev_b64 v[4:5], 2, v[1:2]
	v_add_co_u32 v2, vcc_lo, s16, v4
	s_delay_alu instid0(VALU_DEP_2)
	v_add_co_ci_u32_e32 v3, vcc_lo, s17, v5, vcc_lo
	v_add_co_u32 v4, vcc_lo, s18, v4
	v_add_co_ci_u32_e32 v5, vcc_lo, s19, v5, vcc_lo
	.p2align	6
.LBB15_84:                              ;   Parent Loop BB15_82 Depth=1
                                        ; =>  This Inner Loop Header: Depth=2
	v_dual_mov_b32 v8, s1 :: v_dual_add_nc_u32 v1, 1, v1
	global_store_b32 v[4:5], v6, off
	v_add_co_u32 v4, vcc_lo, v4, 4
	v_add_co_ci_u32_e32 v5, vcc_lo, 0, v5, vcc_lo
	global_store_b32 v[2:3], v8, off
	v_cmp_ge_i32_e32 vcc_lo, v1, v7
	v_add_co_u32 v2, s0, v2, 4
	s_delay_alu instid0(VALU_DEP_1) | instskip(SKIP_1) | instid1(SALU_CYCLE_1)
	v_add_co_ci_u32_e64 v3, s0, 0, v3, s0
	s_or_b32 s4, vcc_lo, s4
	s_and_not1_b32 exec_lo, exec_lo, s4
	s_cbranch_execnz .LBB15_84
	s_branch .LBB15_81
.LBB15_85:
	s_set_inst_prefetch_distance 0x2
	s_nop 0
	s_sendmsg sendmsg(MSG_DEALLOC_VGPRS)
	s_endpgm
	.section	.rodata,"a",@progbits
	.p2align	6, 0x0
	.amdhsa_kernel _ZN5aiter22opus_moe_sorting_entryINS_16MoeSortingKernelINS_19MoeSortingProblemExIifLi2ELb0ELb1ELb0ELb1ELi0EEEEENS4_5KargsEEEvT0_
		.amdhsa_group_segment_fixed_size 0
		.amdhsa_private_segment_fixed_size 0
		.amdhsa_kernarg_size 400
		.amdhsa_user_sgpr_count 15
		.amdhsa_user_sgpr_dispatch_ptr 0
		.amdhsa_user_sgpr_queue_ptr 0
		.amdhsa_user_sgpr_kernarg_segment_ptr 1
		.amdhsa_user_sgpr_dispatch_id 0
		.amdhsa_user_sgpr_private_segment_size 0
		.amdhsa_wavefront_size32 1
		.amdhsa_uses_dynamic_stack 0
		.amdhsa_enable_private_segment 0
		.amdhsa_system_sgpr_workgroup_id_x 1
		.amdhsa_system_sgpr_workgroup_id_y 0
		.amdhsa_system_sgpr_workgroup_id_z 0
		.amdhsa_system_sgpr_workgroup_info 0
		.amdhsa_system_vgpr_workitem_id 0
		.amdhsa_next_free_vgpr 26
		.amdhsa_next_free_sgpr 48
		.amdhsa_reserve_vcc 1
		.amdhsa_float_round_mode_32 0
		.amdhsa_float_round_mode_16_64 0
		.amdhsa_float_denorm_mode_32 3
		.amdhsa_float_denorm_mode_16_64 3
		.amdhsa_dx10_clamp 1
		.amdhsa_ieee_mode 1
		.amdhsa_fp16_overflow 0
		.amdhsa_workgroup_processor_mode 1
		.amdhsa_memory_ordered 1
		.amdhsa_forward_progress 0
		.amdhsa_shared_vgpr_count 0
		.amdhsa_exception_fp_ieee_invalid_op 0
		.amdhsa_exception_fp_denorm_src 0
		.amdhsa_exception_fp_ieee_div_zero 0
		.amdhsa_exception_fp_ieee_overflow 0
		.amdhsa_exception_fp_ieee_underflow 0
		.amdhsa_exception_fp_ieee_inexact 0
		.amdhsa_exception_int_div_zero 0
	.end_amdhsa_kernel
	.section	.text._ZN5aiter22opus_moe_sorting_entryINS_16MoeSortingKernelINS_19MoeSortingProblemExIifLi2ELb0ELb1ELb0ELb1ELi0EEEEENS4_5KargsEEEvT0_,"axG",@progbits,_ZN5aiter22opus_moe_sorting_entryINS_16MoeSortingKernelINS_19MoeSortingProblemExIifLi2ELb0ELb1ELb0ELb1ELi0EEEEENS4_5KargsEEEvT0_,comdat
.Lfunc_end15:
	.size	_ZN5aiter22opus_moe_sorting_entryINS_16MoeSortingKernelINS_19MoeSortingProblemExIifLi2ELb0ELb1ELb0ELb1ELi0EEEEENS4_5KargsEEEvT0_, .Lfunc_end15-_ZN5aiter22opus_moe_sorting_entryINS_16MoeSortingKernelINS_19MoeSortingProblemExIifLi2ELb0ELb1ELb0ELb1ELi0EEEEENS4_5KargsEEEvT0_
                                        ; -- End function
	.section	.AMDGPU.csdata,"",@progbits
; Kernel info:
; codeLenInByte = 4016
; NumSgprs: 50
; NumVgprs: 26
; ScratchSize: 0
; MemoryBound: 0
; FloatMode: 240
; IeeeMode: 1
; LDSByteSize: 0 bytes/workgroup (compile time only)
; SGPRBlocks: 6
; VGPRBlocks: 3
; NumSGPRsForWavesPerEU: 50
; NumVGPRsForWavesPerEU: 26
; Occupancy: 16
; WaveLimiterHint : 1
; COMPUTE_PGM_RSRC2:SCRATCH_EN: 0
; COMPUTE_PGM_RSRC2:USER_SGPR: 15
; COMPUTE_PGM_RSRC2:TRAP_HANDLER: 0
; COMPUTE_PGM_RSRC2:TGID_X_EN: 1
; COMPUTE_PGM_RSRC2:TGID_Y_EN: 0
; COMPUTE_PGM_RSRC2:TGID_Z_EN: 0
; COMPUTE_PGM_RSRC2:TIDIG_COMP_CNT: 0
	.section	.text._ZN5aiter22opus_moe_sorting_entryINS_16MoeSortingKernelINS_19MoeSortingProblemExIifLi1ELb0ELb1ELb0ELb1ELi0EEEEENS4_5KargsEEEvT0_,"axG",@progbits,_ZN5aiter22opus_moe_sorting_entryINS_16MoeSortingKernelINS_19MoeSortingProblemExIifLi1ELb0ELb1ELb0ELb1ELi0EEEEENS4_5KargsEEEvT0_,comdat
	.protected	_ZN5aiter22opus_moe_sorting_entryINS_16MoeSortingKernelINS_19MoeSortingProblemExIifLi1ELb0ELb1ELb0ELb1ELi0EEEEENS4_5KargsEEEvT0_ ; -- Begin function _ZN5aiter22opus_moe_sorting_entryINS_16MoeSortingKernelINS_19MoeSortingProblemExIifLi1ELb0ELb1ELb0ELb1ELi0EEEEENS4_5KargsEEEvT0_
	.globl	_ZN5aiter22opus_moe_sorting_entryINS_16MoeSortingKernelINS_19MoeSortingProblemExIifLi1ELb0ELb1ELb0ELb1ELi0EEEEENS4_5KargsEEEvT0_
	.p2align	8
	.type	_ZN5aiter22opus_moe_sorting_entryINS_16MoeSortingKernelINS_19MoeSortingProblemExIifLi1ELb0ELb1ELb0ELb1ELi0EEEEENS4_5KargsEEEvT0_,@function
_ZN5aiter22opus_moe_sorting_entryINS_16MoeSortingKernelINS_19MoeSortingProblemExIifLi1ELb0ELb1ELb0ELb1ELi0EEEEENS4_5KargsEEEvT0_: ; @_ZN5aiter22opus_moe_sorting_entryINS_16MoeSortingKernelINS_19MoeSortingProblemExIifLi1ELb0ELb1ELb0ELb1ELi0EEEEENS4_5KargsEEEvT0_
; %bb.0:
	s_clause 0x1
	s_load_b256 s[16:23], s[0:1], 0x20
	s_load_b256 s[4:11], s[0:1], 0x40
	s_cmp_eq_u32 s15, 0
	s_cbranch_scc1 .LBB16_7
; %bb.1:
	s_waitcnt lgkmcnt(0)
	s_cmp_eq_u64 s[4:5], 0
	s_cbranch_scc1 .LBB16_6
; %bb.2:
	s_mul_i32 s2, s10, s8
	s_ashr_i32 s3, s11, 31
	s_mul_hi_u32 s12, s2, s11
	s_mul_i32 s3, s2, s3
	s_mul_hi_i32 s10, s10, s8
	s_add_i32 s3, s12, s3
	s_mul_i32 s10, s10, s11
	s_mul_i32 s2, s2, s11
	s_add_i32 s3, s3, s10
	v_mov_b32_e32 v2, 0
	s_ashr_i32 s10, s3, 31
	s_mov_b32 s13, 0
	s_lshr_b32 s10, s10, 28
	s_delay_alu instid0(SALU_CYCLE_1) | instskip(SKIP_2) | instid1(SALU_CYCLE_1)
	s_add_u32 s2, s2, s10
	s_addc_u32 s3, s3, 0
	s_lshl_b32 s10, s15, 8
	v_add3_u32 v1, v0, s10, 0xffffff00
	s_ashr_i64 s[10:11], s[2:3], 4
	s_mov_b32 s3, exec_lo
	s_delay_alu instid0(VALU_DEP_1)
	v_cmpx_gt_i64_e64 s[10:11], v[1:2]
	s_cbranch_execz .LBB16_5
; %bb.3:
	s_load_b32 s2, s[0:1], 0x90
	v_lshlrev_b64 v[3:4], 4, v[1:2]
	v_dual_mov_b32 v6, v2 :: v_dual_mov_b32 v5, v1
	v_mov_b32_e32 v1, v2
	s_delay_alu instid0(VALU_DEP_3) | instskip(NEXT) | instid1(VALU_DEP_4)
	v_add_co_u32 v7, vcc_lo, s4, v3
	v_add_co_ci_u32_e32 v8, vcc_lo, s5, v4, vcc_lo
	v_mov_b32_e32 v3, v2
	v_mov_b32_e32 v4, v2
	s_waitcnt lgkmcnt(0)
	s_lshl_b32 s2, s2, 8
	s_delay_alu instid0(SALU_CYCLE_1) | instskip(NEXT) | instid1(SALU_CYCLE_1)
	s_add_i32 s12, s2, 0xffffff00
	s_lshl_b64 s[4:5], s[12:13], 4
.LBB16_4:                               ; =>This Inner Loop Header: Depth=1
	v_add_co_u32 v5, vcc_lo, v5, s12
	v_add_co_ci_u32_e32 v6, vcc_lo, 0, v6, vcc_lo
	global_store_b128 v[7:8], v[1:4], off
	v_add_co_u32 v7, s2, v7, s4
	v_cmp_le_i64_e32 vcc_lo, s[10:11], v[5:6]
	v_add_co_ci_u32_e64 v8, s2, s5, v8, s2
	s_or_b32 s13, vcc_lo, s13
	s_delay_alu instid0(SALU_CYCLE_1)
	s_and_not1_b32 exec_lo, exec_lo, s13
	s_cbranch_execnz .LBB16_4
.LBB16_5:
	s_or_b32 exec_lo, exec_lo, s3
.LBB16_6:
	s_cbranch_execz .LBB16_8
	s_branch .LBB16_85
.LBB16_7:
.LBB16_8:
	s_clause 0x1
	s_load_b256 s[24:31], s[0:1], 0x64
	s_load_b128 s[12:15], s[0:1], 0x0
	s_waitcnt lgkmcnt(0)
	s_clause 0x1
	s_load_b64 s[10:11], s[0:1], 0x10
	s_load_b64 s[34:35], s[0:1], 0x84
	v_lshrrev_b32_e32 v1, 5, v0
	v_lshlrev_b32_e32 v7, 2, v0
	s_add_i32 s37, s9, 1
	s_delay_alu instid0(VALU_DEP_2) | instskip(SKIP_1) | instid1(SALU_CYCLE_1)
	v_readfirstlane_b32 s42, v1
	s_add_i32 s33, s24, -2
	s_mul_i32 s36, s33, s9
	s_delay_alu instid0(SALU_CYCLE_1) | instskip(NEXT) | instid1(VALU_DEP_1)
	v_cmp_gt_i32_e64 s0, s36, v0
	s_and_saveexec_b32 s38, s0
	s_cbranch_execz .LBB16_11
; %bb.9:
	s_lshl_b32 s1, s9, 3
	s_waitcnt lgkmcnt(0)
	v_mad_u64_u32 v[1:2], null, v0, s34, 0
	s_add_i32 s1, s1, 0
	v_dual_mov_b32 v4, 0 :: v_dual_mov_b32 v5, v0
	v_add3_u32 v3, s1, v7, 8
	s_mov_b32 s3, 0
	s_sub_i32 s4, s37, s31
	s_mov_b32 s2, s34
	s_lshl_b32 s39, s4, 2
	s_lshl_b64 s[4:5], s[2:3], 8
	.p2align	6
.LBB16_10:                              ; =>This Inner Loop Header: Depth=1
	v_add_nc_u32_e32 v6, v5, v2
	v_add_nc_u32_e32 v5, 0x100, v5
	v_add_co_u32 v1, vcc_lo, v1, s4
	v_add_co_ci_u32_e32 v2, vcc_lo, s5, v2, vcc_lo
	s_delay_alu instid0(VALU_DEP_4) | instskip(NEXT) | instid1(VALU_DEP_4)
	v_lshrrev_b32_e32 v6, s35, v6
	v_cmp_le_i32_e64 s1, s36, v5
	s_delay_alu instid0(VALU_DEP_2) | instskip(SKIP_1) | instid1(VALU_DEP_3)
	v_mad_u64_u32 v[8:9], null, s39, v6, v[3:4]
	v_add_nc_u32_e32 v3, 0x400, v3
	s_or_b32 s3, s1, s3
	ds_store_b32 v8, v4
	s_and_not1_b32 exec_lo, exec_lo, s3
	s_cbranch_execnz .LBB16_10
.LBB16_11:
	s_or_b32 exec_lo, exec_lo, s38
	s_lshl_b32 s1, s37, 3
	s_mul_i32 s39, s28, s33
	s_add_i32 s38, s1, 0
	v_cmp_gt_i32_e32 vcc_lo, s39, v0
	s_cmp_gt_i32 s8, 0
	s_mov_b32 s3, 0
	s_cselect_b32 s40, -1, 0
	s_cmp_lt_i32 s8, 1
	s_waitcnt lgkmcnt(0)
	s_waitcnt_vscnt null, 0x0
	s_barrier
	buffer_gl0_inv
	s_cbranch_scc1 .LBB16_19
; %bb.12:
	v_mad_u64_u32 v[1:2], null, v0, s29, 0
	v_mov_b32_e32 v4, 0
	s_mov_b32 s2, s29
	s_mov_b32 s41, 0
	s_lshl_b64 s[4:5], s[2:3], 8
	s_branch .LBB16_14
.LBB16_13:                              ;   in Loop: Header=BB16_14 Depth=1
	s_set_inst_prefetch_distance 0x2
	s_or_b32 exec_lo, exec_lo, s43
	s_add_i32 s41, s41, s33
	s_add_i32 s3, s3, s39
	s_cmp_ge_i32 s41, s8
	s_waitcnt lgkmcnt(0)
	s_barrier
	buffer_gl0_inv
	s_cbranch_scc1 .LBB16_19
.LBB16_14:                              ; =>This Loop Header: Depth=1
                                        ;     Child Loop BB16_17 Depth 2
	s_and_saveexec_b32 s43, vcc_lo
	s_cbranch_execz .LBB16_13
; %bb.15:                               ;   in Loop: Header=BB16_14 Depth=1
	v_dual_mov_b32 v6, v2 :: v_dual_mov_b32 v5, v1
	v_mov_b32_e32 v8, v0
	s_mov_b32 s44, 0
	s_set_inst_prefetch_distance 0x1
	s_branch .LBB16_17
	.p2align	6
.LBB16_16:                              ;   in Loop: Header=BB16_17 Depth=2
	s_or_b32 exec_lo, exec_lo, s2
	v_add_nc_u32_e32 v8, 0x100, v8
	v_add_co_u32 v5, s2, v5, s4
	s_delay_alu instid0(VALU_DEP_1) | instskip(NEXT) | instid1(VALU_DEP_3)
	v_add_co_ci_u32_e64 v6, s2, s5, v6, s2
	v_cmp_le_i32_e64 s1, s39, v8
	s_waitcnt vmcnt(48) lgkmcnt(7)
	s_delay_alu instid0(VALU_DEP_1) | instskip(NEXT) | instid1(SALU_CYCLE_1)
	s_or_b32 s44, s1, s44
	s_and_not1_b32 exec_lo, exec_lo, s44
	s_cbranch_execz .LBB16_13
.LBB16_17:                              ;   Parent Loop BB16_14 Depth=1
                                        ; =>  This Inner Loop Header: Depth=2
	s_delay_alu instid0(VALU_DEP_1) | instskip(SKIP_1) | instid1(VALU_DEP_1)
	v_add_nc_u32_e32 v3, v8, v6
	s_mov_b32 s2, exec_lo
	v_lshrrev_b32_e32 v9, s30, v3
	s_delay_alu instid0(VALU_DEP_1) | instskip(NEXT) | instid1(VALU_DEP_1)
	v_add_nc_u32_e32 v3, s41, v9
	v_cmpx_gt_i32_e64 s8, v3
	s_cbranch_execz .LBB16_16
; %bb.18:                               ;   in Loop: Header=BB16_17 Depth=2
	v_add_nc_u32_e32 v3, s3, v8
	v_mul_lo_u32 v9, v9, s37
	s_delay_alu instid0(VALU_DEP_2) | instskip(NEXT) | instid1(VALU_DEP_2)
	v_lshlrev_b64 v[10:11], 2, v[3:4]
	v_lshlrev_b32_e32 v9, 2, v9
	s_delay_alu instid0(VALU_DEP_2) | instskip(NEXT) | instid1(VALU_DEP_1)
	v_add_co_u32 v10, s1, s12, v10
	v_add_co_ci_u32_e64 v11, s1, s13, v11, s1
	global_load_b32 v3, v[10:11], off
	s_waitcnt vmcnt(0)
	v_lshlrev_b32_e32 v3, 2, v3
	s_delay_alu instid0(VALU_DEP_1)
	v_add3_u32 v3, s38, v3, v9
	ds_load_b32 v9, v3
	s_waitcnt lgkmcnt(0)
	v_add_nc_u32_e32 v9, 1, v9
	ds_store_b32 v3, v9
	s_branch .LBB16_16
.LBB16_19:
	s_mov_b32 s1, exec_lo
	v_cmpx_eq_u32_e32 0, v0
	s_cbranch_execz .LBB16_21
; %bb.20:
	v_mov_b32_e32 v1, 0
	ds_store_b32 v1, v1
.LBB16_21:
	s_or_b32 exec_lo, exec_lo, s1
	v_and_b32_e32 v9, 7, v0
	v_lshrrev_b32_e32 v10, 3, v0
	v_mbcnt_lo_u32_b32 v12, -1, 0
	s_mov_b32 s4, 0
	s_delay_alu instid0(VALU_DEP_3) | instskip(NEXT) | instid1(VALU_DEP_3)
	v_mul_lo_u32 v1, s37, v9
	v_cmp_gt_i32_e64 s1, s9, v10
	v_lshlrev_b32_e32 v11, 2, v10
	s_delay_alu instid0(VALU_DEP_3) | instskip(NEXT) | instid1(VALU_DEP_3)
	v_lshlrev_b32_e32 v8, 2, v1
	s_and_saveexec_b32 s3, s1
	s_cbranch_execz .LBB16_29
; %bb.22:
	s_cmp_gt_i32 s24, 2
	v_lshlrev_b32_e32 v3, 2, v12
	s_cselect_b32 s5, -1, 0
	s_lshl_b32 s2, s9, 3
	v_mov_b32_e32 v5, v10
	v_add3_u32 v4, v8, s2, v11
	v_cmp_eq_u32_e64 s2, 0, v9
	v_xor_b32_e32 v1, 4, v3
	v_xor_b32_e32 v2, 8, v3
	;; [unrolled: 1-line block ×3, first 2 shown]
	v_add3_u32 v4, v4, 0, 8
	s_lshl_b32 s24, s9, 5
	s_delay_alu instid0(SALU_CYCLE_1)
	s_add_i32 s24, s24, 32
	s_set_inst_prefetch_distance 0x1
	s_branch .LBB16_24
	.p2align	6
.LBB16_23:                              ;   in Loop: Header=BB16_24 Depth=1
	s_or_b32 exec_lo, exec_lo, s41
	v_add_nc_u32_e32 v5, 32, v5
	v_add_nc_u32_e32 v4, 0x80, v4
	s_delay_alu instid0(VALU_DEP_2) | instskip(SKIP_1) | instid1(SALU_CYCLE_1)
	v_cmp_le_i32_e32 vcc_lo, s9, v5
	s_or_b32 s4, vcc_lo, s4
	s_and_not1_b32 exec_lo, exec_lo, s4
	s_cbranch_execz .LBB16_29
.LBB16_24:                              ; =>This Loop Header: Depth=1
                                        ;     Child Loop BB16_26 Depth 2
	v_mov_b32_e32 v6, 0
	s_and_not1_b32 vcc_lo, exec_lo, s5
	s_cbranch_vccnz .LBB16_27
; %bb.25:                               ;   in Loop: Header=BB16_24 Depth=1
	v_dual_mov_b32 v6, 0 :: v_dual_mov_b32 v13, v4
	s_mov_b32 s41, 0
.LBB16_26:                              ;   Parent Loop BB16_24 Depth=1
                                        ; =>  This Inner Loop Header: Depth=2
	ds_load_b32 v14, v13
	v_add_nc_u32_e32 v13, s24, v13
	s_add_i32 s41, s41, 8
	s_delay_alu instid0(SALU_CYCLE_1)
	s_cmp_ge_i32 s41, s33
	s_waitcnt lgkmcnt(0)
	ds_bpermute_b32 v15, v1, v14
	s_waitcnt lgkmcnt(0)
	v_add_nc_u32_e32 v14, v15, v14
	ds_bpermute_b32 v15, v2, v14
	s_waitcnt lgkmcnt(0)
	v_add_nc_u32_e32 v14, v15, v14
	ds_bpermute_b32 v15, v3, v14
	s_waitcnt lgkmcnt(0)
	v_add3_u32 v6, v14, v6, v15
	s_cbranch_scc0 .LBB16_26
.LBB16_27:                              ;   in Loop: Header=BB16_24 Depth=1
	s_and_saveexec_b32 s41, s2
	s_cbranch_execz .LBB16_23
; %bb.28:                               ;   in Loop: Header=BB16_24 Depth=1
	v_lshl_add_u32 v13, v5, 2, 0
	ds_store_b32 v13, v6 offset:4
	s_branch .LBB16_23
.LBB16_29:
	s_set_inst_prefetch_distance 0x2
	s_or_b32 exec_lo, exec_lo, s3
	s_lshl_b32 s5, s9, 2
	v_cmp_gt_i32_e64 s2, s9, v0
	s_add_i32 s41, s5, 0
	s_delay_alu instid0(SALU_CYCLE_1)
	v_dual_mov_b32 v1, 0 :: v_dual_mov_b32 v2, s41
	s_mov_b32 s4, 0
	ds_store_b32 v2, v1 offset:4
	s_and_saveexec_b32 s24, s2
	s_cbranch_execz .LBB16_32
; %bb.30:
	v_add_co_u32 v1, s3, s10, v7
	v_add3_u32 v3, s41, v7, 8
	v_add_co_ci_u32_e64 v2, null, s11, 0, s3
	v_mov_b32_e32 v4, v0
	.p2align	6
.LBB16_31:                              ; =>This Inner Loop Header: Depth=1
	global_load_b32 v5, v[1:2], off
	v_add_nc_u32_e32 v4, 0x100, v4
	v_add_co_u32 v1, vcc_lo, 0x400, v1
	v_add_co_ci_u32_e32 v2, vcc_lo, 0, v2, vcc_lo
	s_delay_alu instid0(VALU_DEP_3) | instskip(NEXT) | instid1(VALU_DEP_1)
	v_cmp_le_i32_e64 s3, s9, v4
	s_or_b32 s4, s3, s4
	s_waitcnt vmcnt(0)
	ds_store_b32 v3, v5
	v_add_nc_u32_e32 v3, 0x400, v3
	s_and_not1_b32 exec_lo, exec_lo, s4
	s_cbranch_execnz .LBB16_31
.LBB16_32:
	s_or_b32 exec_lo, exec_lo, s24
	s_add_i32 s24, s41, 4
	s_cmp_lg_u32 s42, 0
	s_mov_b32 s42, 0
	s_waitcnt lgkmcnt(0)
	s_barrier
	buffer_gl0_inv
	s_cbranch_scc1 .LBB16_43
; %bb.33:
	v_mov_b32_e32 v1, 0
	s_cmp_lt_i32 s9, 1
	s_cbranch_scc1 .LBB16_40
; %bb.34:
	v_lshlrev_b32_e32 v1, 2, v12
	v_cmp_eq_u32_e32 vcc_lo, 0, v12
	v_cmp_lt_u32_e64 s3, 15, v12
	s_add_i32 s43, s25, -1
	s_delay_alu instid0(VALU_DEP_3) | instskip(SKIP_1) | instid1(VALU_DEP_2)
	v_and_b32_e32 v2, 64, v1
	v_add_nc_u32_e32 v3, 0, v1
	v_add_nc_u32_e32 v2, -4, v2
	s_branch .LBB16_36
.LBB16_35:                              ;   in Loop: Header=BB16_36 Depth=1
	s_or_b32 exec_lo, exec_lo, s44
	v_add_nc_u32_e32 v3, 0x80, v3
	s_add_i32 s42, s42, 32
	s_waitcnt vmcnt(48) lgkmcnt(7)
	s_cmp_lt_i32 s42, s9
	s_cbranch_scc0 .LBB16_40
.LBB16_36:                              ; =>This Inner Loop Header: Depth=1
	ds_load_b32 v1, v3 offset:4
	v_add_nc_u32_e32 v4, s5, v3
	s_waitcnt lgkmcnt(1)
	v_cndmask_b32_e64 v6, 0, s42, vcc_lo
	ds_load_b32 v5, v4 offset:8
	v_lshlrev_b32_e32 v6, 2, v6
	s_delay_alu instid0(VALU_DEP_1) | instskip(SKIP_4) | instid1(VALU_DEP_1)
	v_add_nc_u32_e32 v14, 0, v6
	v_add_nc_u32_e32 v6, s24, v6
	ds_load_b32 v6, v6
	s_waitcnt lgkmcnt(2)
	v_add_nc_u32_e32 v1, s43, v1
	v_mul_hi_u32 v13, v1, s26
	s_waitcnt lgkmcnt(1)
	v_cmp_ne_u32_e64 s4, 0, v5
	s_delay_alu instid0(VALU_DEP_2) | instskip(SKIP_3) | instid1(VALU_DEP_1)
	v_add_nc_u32_e32 v1, v1, v13
	ds_load_b32 v13, v14
	v_add_nc_u32_e32 v14, s42, v12
	v_lshrrev_b32_e32 v1, s27, v1
	v_mul_lo_u32 v1, v1, s25
	s_delay_alu instid0(VALU_DEP_1) | instskip(NEXT) | instid1(VALU_DEP_4)
	v_cndmask_b32_e64 v1, 0, v1, s4
	v_cmp_gt_i32_e64 s4, s9, v14
	s_waitcnt lgkmcnt(0)
	s_delay_alu instid0(VALU_DEP_2) | instskip(NEXT) | instid1(VALU_DEP_1)
	v_add_nc_u32_e32 v1, v1, v13
	v_add_nc_u32_dpp v1, v1, v1 row_shr:1 row_mask:0xf bank_mask:0xf bound_ctrl:1
	s_delay_alu instid0(VALU_DEP_1) | instskip(NEXT) | instid1(VALU_DEP_1)
	v_add_nc_u32_dpp v1, v1, v1 row_shr:2 row_mask:0xf bank_mask:0xf bound_ctrl:1
	v_add_nc_u32_dpp v1, v1, v1 row_shr:4 row_mask:0xf bank_mask:0xf bound_ctrl:1
	s_delay_alu instid0(VALU_DEP_1) | instskip(SKIP_3) | instid1(VALU_DEP_1)
	v_add_nc_u32_dpp v1, v1, v1 row_shr:8 row_mask:0xf bank_mask:0xf bound_ctrl:1
	ds_bpermute_b32 v13, v2, v1
	s_waitcnt lgkmcnt(0)
	v_cndmask_b32_e64 v13, 0, v13, s3
	v_add_nc_u32_e32 v1, v1, v13
	s_and_saveexec_b32 s44, s4
	s_cbranch_execz .LBB16_38
; %bb.37:                               ;   in Loop: Header=BB16_36 Depth=1
	ds_store_b32 v3, v1 offset:4
.LBB16_38:                              ;   in Loop: Header=BB16_36 Depth=1
	s_or_b32 exec_lo, exec_lo, s44
	v_add_nc_u32_e32 v5, v5, v6
	s_delay_alu instid0(VALU_DEP_1) | instskip(NEXT) | instid1(VALU_DEP_1)
	v_add_nc_u32_dpp v5, v5, v5 row_shr:1 row_mask:0xf bank_mask:0xf bound_ctrl:1
	v_add_nc_u32_dpp v5, v5, v5 row_shr:2 row_mask:0xf bank_mask:0xf bound_ctrl:1
	s_delay_alu instid0(VALU_DEP_1) | instskip(NEXT) | instid1(VALU_DEP_1)
	v_add_nc_u32_dpp v5, v5, v5 row_shr:4 row_mask:0xf bank_mask:0xf bound_ctrl:1
	v_add_nc_u32_dpp v5, v5, v5 row_shr:8 row_mask:0xf bank_mask:0xf bound_ctrl:1
	ds_bpermute_b32 v6, v2, v5
	s_and_saveexec_b32 s44, s4
	s_cbranch_execz .LBB16_35
; %bb.39:                               ;   in Loop: Header=BB16_36 Depth=1
	s_waitcnt lgkmcnt(0)
	v_cndmask_b32_e64 v6, 0, v6, s3
	s_delay_alu instid0(VALU_DEP_1)
	v_add_nc_u32_e32 v5, v6, v5
	ds_store_b32 v4, v5 offset:8
	s_branch .LBB16_35
.LBB16_40:
	v_add3_u32 v2, v12, s42, 0xffffffe1
	s_mov_b32 s3, exec_lo
	s_delay_alu instid0(VALU_DEP_1)
	v_cmpx_eq_u32_e64 s9, v2
	s_cbranch_execz .LBB16_42
; %bb.41:
	v_dual_mov_b32 v3, 0 :: v_dual_mov_b32 v2, s8
	global_store_b64 v3, v[1:2], s[22:23]
.LBB16_42:
	s_or_b32 exec_lo, exec_lo, s3
.LBB16_43:
	s_cmp_eq_u64 s[6:7], 0
	s_waitcnt lgkmcnt(0)
	s_waitcnt_vscnt null, 0x0
	s_barrier
	buffer_gl0_inv
	s_cbranch_scc1 .LBB16_50
; %bb.44:
	s_mul_i32 s4, s28, s8
	s_mov_b32 s22, exec_lo
	v_cmpx_gt_i32_e64 s4, v0
	s_cbranch_execz .LBB16_49
; %bb.45:
	v_add_co_u32 v1, s3, s12, v7
	s_delay_alu instid0(VALU_DEP_1) | instskip(SKIP_1) | instid1(VALU_DEP_1)
	v_add_co_ci_u32_e64 v2, null, s13, 0, s3
	v_add_co_u32 v3, s3, s6, v7
	v_add_co_ci_u32_e64 v4, null, s7, 0, s3
	v_mov_b32_e32 v13, v0
	s_mov_b32 s6, 0
	s_set_inst_prefetch_distance 0x1
	s_branch .LBB16_47
	.p2align	6
.LBB16_46:                              ;   in Loop: Header=BB16_47 Depth=1
	s_or_b32 exec_lo, exec_lo, s3
	v_add_nc_u32_e32 v13, 0x100, v13
	v_add_co_u32 v1, vcc_lo, 0x400, v1
	v_add_co_ci_u32_e32 v2, vcc_lo, 0, v2, vcc_lo
	s_waitcnt lgkmcnt(0)
	global_store_b32 v[3:4], v6, off
	v_cmp_le_i32_e32 vcc_lo, s4, v13
	v_add_co_u32 v3, s3, 0x400, v3
	s_delay_alu instid0(VALU_DEP_1) | instskip(SKIP_1) | instid1(SALU_CYCLE_1)
	v_add_co_ci_u32_e64 v4, s3, 0, v4, s3
	s_or_b32 s6, vcc_lo, s6
	s_and_not1_b32 exec_lo, exec_lo, s6
	s_cbranch_execz .LBB16_49
.LBB16_47:                              ; =>This Inner Loop Header: Depth=1
	global_load_b32 v5, v[1:2], off
	s_waitcnt vmcnt(0)
	v_ashrrev_i32_e32 v6, 31, v5
	s_delay_alu instid0(VALU_DEP_1) | instskip(NEXT) | instid1(VALU_DEP_1)
	v_lshlrev_b64 v[14:15], 2, v[5:6]
	v_add_co_u32 v14, vcc_lo, s10, v14
	s_delay_alu instid0(VALU_DEP_2)
	v_add_co_ci_u32_e32 v15, vcc_lo, s11, v15, vcc_lo
	global_load_b32 v6, v[14:15], off
	s_waitcnt vmcnt(0)
	v_cmp_ne_u32_e32 vcc_lo, 0, v6
	v_mov_b32_e32 v6, -1
	s_and_saveexec_b32 s3, vcc_lo
	s_cbranch_execz .LBB16_46
; %bb.48:                               ;   in Loop: Header=BB16_47 Depth=1
	v_lshl_add_u32 v5, v5, 2, s24
	ds_load_b32 v6, v5
	s_branch .LBB16_46
.LBB16_49:
	s_set_inst_prefetch_distance 0x2
	s_or_b32 exec_lo, exec_lo, s22
	s_waitcnt_vscnt null, 0x0
	s_barrier
	buffer_gl0_inv
.LBB16_50:
	s_and_saveexec_b32 s4, s2
	s_cbranch_execz .LBB16_57
; %bb.51:
	v_dual_mov_b32 v2, 0 :: v_dual_mov_b32 v3, v0
	s_mov_b32 s6, 0
	s_branch .LBB16_53
.LBB16_52:                              ;   in Loop: Header=BB16_53 Depth=1
	s_or_b32 exec_lo, exec_lo, s7
	v_add_nc_u32_e32 v3, 0x100, v3
	s_delay_alu instid0(VALU_DEP_1) | instskip(SKIP_1) | instid1(SALU_CYCLE_1)
	v_cmp_le_i32_e32 vcc_lo, s9, v3
	s_or_b32 s6, vcc_lo, s6
	s_and_not1_b32 exec_lo, exec_lo, s6
	s_cbranch_execz .LBB16_57
.LBB16_53:                              ; =>This Loop Header: Depth=1
                                        ;     Child Loop BB16_56 Depth 2
	s_delay_alu instid0(VALU_DEP_1) | instskip(SKIP_1) | instid1(VALU_DEP_1)
	v_lshlrev_b32_e32 v1, 2, v3
	s_mov_b32 s7, exec_lo
	v_add_nc_u32_e32 v4, 0, v1
	v_add_nc_u32_e32 v1, s24, v1
	ds_load_2addr_b32 v[5:6], v4 offset1:1
	s_waitcnt lgkmcnt(2)
	ds_load_b32 v13, v1
	s_waitcnt lgkmcnt(1)
	ds_store_b32 v1, v5
	v_cmpx_ne_u32_e64 v5, v6
	s_cbranch_execz .LBB16_52
; %bb.54:                               ;   in Loop: Header=BB16_53 Depth=1
	v_mov_b32_e32 v4, v2
	v_cmp_lt_i32_e64 s3, v5, v6
	s_delay_alu instid0(VALU_DEP_2) | instskip(NEXT) | instid1(VALU_DEP_1)
	v_lshlrev_b64 v[14:15], 2, v[3:4]
	v_add_co_u32 v14, vcc_lo, s10, v14
	s_delay_alu instid0(VALU_DEP_2) | instskip(SKIP_4) | instid1(SALU_CYCLE_1)
	v_add_co_ci_u32_e32 v15, vcc_lo, s11, v15, vcc_lo
	global_load_b32 v1, v[14:15], off
	s_waitcnt vmcnt(0)
	v_cmp_ne_u32_e32 vcc_lo, 0, v1
	s_and_b32 s3, s3, vcc_lo
	s_and_b32 exec_lo, exec_lo, s3
	s_cbranch_execz .LBB16_52
; %bb.55:                               ;   in Loop: Header=BB16_53 Depth=1
	s_mov_b32 s22, 0
	.p2align	6
.LBB16_56:                              ;   Parent Loop BB16_53 Depth=1
                                        ; =>  This Inner Loop Header: Depth=2
	v_mul_hi_u32 v1, s26, v5
	s_delay_alu instid0(VALU_DEP_1) | instskip(SKIP_1) | instid1(VALU_DEP_2)
	v_add_nc_u32_e32 v1, v5, v1
	v_add_nc_u32_e32 v5, s25, v5
	v_lshrrev_b32_e32 v1, s27, v1
	s_delay_alu instid0(VALU_DEP_2) | instskip(NEXT) | instid1(VALU_DEP_2)
	v_cmp_ge_i32_e32 vcc_lo, v5, v6
	v_lshlrev_b64 v[14:15], 2, v[1:2]
	s_or_b32 s22, vcc_lo, s22
	s_delay_alu instid0(VALU_DEP_1) | instskip(NEXT) | instid1(VALU_DEP_1)
	v_add_co_u32 v14, s3, s20, v14
	v_add_co_ci_u32_e64 v15, s3, s21, v15, s3
	s_waitcnt lgkmcnt(1)
	global_store_b32 v[14:15], v13, off
	s_and_not1_b32 exec_lo, exec_lo, s22
	s_cbranch_execnz .LBB16_56
	s_branch .LBB16_52
.LBB16_57:
	s_or_b32 exec_lo, exec_lo, s4
	s_add_i32 s3, s41, s5
	s_delay_alu instid0(SALU_CYCLE_1)
	v_dual_mov_b32 v1, s41 :: v_dual_mov_b32 v2, s3
	s_waitcnt lgkmcnt(0)
	s_waitcnt_vscnt null, 0x0
	s_barrier
	buffer_gl0_inv
	ds_load_b32 v1, v1
	s_and_not1_b32 vcc_lo, exec_lo, s40
	s_waitcnt lgkmcnt(0)
	ds_store_b32 v2, v1 offset:4
	s_cbranch_vccnz .LBB16_79
; %bb.58:
	s_sub_i32 s5, s37, s31
	s_add_u32 s22, s16, -4
	s_addc_u32 s23, s17, -1
	s_add_u32 s25, s14, -4
	s_addc_u32 s26, s15, -1
	v_dual_mov_b32 v6, 0 :: v_dual_and_b32 v1, 8, v12
	s_add_u32 s27, s18, -4
	s_addc_u32 s31, s19, -1
	s_lshl_b32 s41, s9, 3
	s_delay_alu instid0(VALU_DEP_1)
	v_cmp_eq_u32_e64 s4, 0, v1
	v_add3_u32 v5, v8, s41, v11
	v_mad_u64_u32 v[1:2], null, v0, s34, 0
	v_mad_u64_u32 v[3:4], null, v0, s29, 0
	v_mul_lo_u32 v11, s28, v9
	s_add_i32 s14, s41, 0
	s_mov_b32 s7, 0
	v_cmp_gt_i32_e32 vcc_lo, s39, v0
	v_cmp_gt_i32_e64 s3, s33, v9
	v_or_b32_e32 v12, 28, v7
	v_add3_u32 v13, s14, v7, 8
	v_add3_u32 v14, v5, 0, 8
	s_mov_b32 s6, s34
	s_mov_b32 s20, s29
	;; [unrolled: 1-line block ×3, first 2 shown]
	s_lshl_b32 s41, s9, 5
	s_lshl_b32 s40, s5, 2
	s_lshl_b64 s[14:15], s[6:7], 8
	s_sub_i32 s34, 0, s28
	s_lshl_b64 s[20:21], s[20:21], 8
	s_lshl_b32 s29, s28, 3
	s_add_i32 s41, s41, 32
	s_mov_b32 s42, s7
	s_branch .LBB16_60
.LBB16_59:                              ;   in Loop: Header=BB16_60 Depth=1
	s_or_b32 exec_lo, exec_lo, s43
	v_add_nc_u32_e32 v11, s39, v11
	s_add_i32 s42, s42, s33
	s_add_i32 s7, s7, s39
	s_cmp_ge_i32 s42, s8
	s_waitcnt lgkmcnt(0)
	s_waitcnt_vscnt null, 0x0
	s_barrier
	buffer_gl0_inv
	s_cbranch_scc1 .LBB16_79
.LBB16_60:                              ; =>This Loop Header: Depth=1
                                        ;     Child Loop BB16_62 Depth 2
                                        ;     Child Loop BB16_66 Depth 2
	;; [unrolled: 1-line block ×3, first 2 shown]
                                        ;       Child Loop BB16_77 Depth 3
	s_and_saveexec_b32 s43, s0
	s_cbranch_execz .LBB16_63
; %bb.61:                               ;   in Loop: Header=BB16_60 Depth=1
	v_dual_mov_b32 v8, v2 :: v_dual_mov_b32 v7, v1
	v_mov_b32_e32 v5, v13
	v_mov_b32_e32 v15, v0
	s_mov_b32 s44, 0
	.p2align	6
.LBB16_62:                              ;   Parent Loop BB16_60 Depth=1
                                        ; =>  This Inner Loop Header: Depth=2
	s_delay_alu instid0(VALU_DEP_1) | instskip(SKIP_2) | instid1(VALU_DEP_1)
	v_add_nc_u32_e32 v16, v15, v8
	v_add_nc_u32_e32 v15, 0x100, v15
	v_add_co_u32 v7, s5, v7, s14
	v_add_co_ci_u32_e64 v8, s5, s15, v8, s5
	s_delay_alu instid0(VALU_DEP_4) | instskip(NEXT) | instid1(VALU_DEP_4)
	v_lshrrev_b32_e32 v18, s35, v16
	v_cmp_le_i32_e64 s6, s36, v15
	s_delay_alu instid0(VALU_DEP_2) | instskip(SKIP_1) | instid1(VALU_DEP_3)
	v_mad_u64_u32 v[16:17], null, s40, v18, v[5:6]
	v_add_nc_u32_e32 v5, 0x400, v5
	s_or_b32 s44, s6, s44
	ds_store_b32 v16, v6
	s_and_not1_b32 exec_lo, exec_lo, s44
	s_cbranch_execnz .LBB16_62
.LBB16_63:                              ;   in Loop: Header=BB16_60 Depth=1
	s_or_b32 exec_lo, exec_lo, s43
	s_waitcnt lgkmcnt(0)
	s_barrier
	buffer_gl0_inv
	s_and_saveexec_b32 s43, vcc_lo
	s_cbranch_execz .LBB16_68
; %bb.64:                               ;   in Loop: Header=BB16_60 Depth=1
	v_dual_mov_b32 v8, v4 :: v_dual_mov_b32 v7, v3
	v_mov_b32_e32 v5, v0
	s_mov_b32 s44, 0
	s_set_inst_prefetch_distance 0x1
	s_branch .LBB16_66
	.p2align	6
.LBB16_65:                              ;   in Loop: Header=BB16_66 Depth=2
	s_or_b32 exec_lo, exec_lo, s6
	v_add_nc_u32_e32 v5, 0x100, v5
	v_add_co_u32 v7, s6, v7, s20
	s_delay_alu instid0(VALU_DEP_1) | instskip(NEXT) | instid1(VALU_DEP_3)
	v_add_co_ci_u32_e64 v8, s6, s21, v8, s6
	v_cmp_le_i32_e64 s5, s39, v5
	s_delay_alu instid0(VALU_DEP_1) | instskip(NEXT) | instid1(SALU_CYCLE_1)
	s_or_b32 s44, s5, s44
	s_and_not1_b32 exec_lo, exec_lo, s44
	s_cbranch_execz .LBB16_68
.LBB16_66:                              ;   Parent Loop BB16_60 Depth=1
                                        ; =>  This Inner Loop Header: Depth=2
	s_delay_alu instid0(VALU_DEP_1) | instskip(SKIP_1) | instid1(VALU_DEP_1)
	v_add_nc_u32_e32 v15, v5, v8
	s_mov_b32 s6, exec_lo
	v_lshrrev_b32_e32 v15, s30, v15
	s_delay_alu instid0(VALU_DEP_1) | instskip(NEXT) | instid1(VALU_DEP_1)
	v_add_nc_u32_e32 v16, s42, v15
	v_cmpx_gt_i32_e64 s8, v16
	s_cbranch_execz .LBB16_65
; %bb.67:                               ;   in Loop: Header=BB16_66 Depth=2
	v_add_nc_u32_e32 v16, s7, v5
	s_delay_alu instid0(VALU_DEP_1) | instskip(NEXT) | instid1(VALU_DEP_1)
	v_ashrrev_i32_e32 v17, 31, v16
	v_lshlrev_b64 v[16:17], 2, v[16:17]
	s_delay_alu instid0(VALU_DEP_1) | instskip(NEXT) | instid1(VALU_DEP_1)
	v_add_co_u32 v16, s5, s12, v16
	v_add_co_ci_u32_e64 v17, s5, s13, v17, s5
	global_load_b32 v16, v[16:17], off
	v_mul_lo_u32 v17, v15, s37
	v_mul_lo_u32 v15, s34, v15
	s_delay_alu instid0(VALU_DEP_2) | instskip(NEXT) | instid1(VALU_DEP_2)
	v_lshlrev_b32_e32 v17, 2, v17
	v_add3_u32 v15, v5, v15, 1
	s_waitcnt vmcnt(0)
	v_lshlrev_b32_e32 v16, 2, v16
	s_delay_alu instid0(VALU_DEP_1)
	v_add3_u32 v16, s38, v16, v17
	ds_store_b32 v16, v15
	s_branch .LBB16_65
.LBB16_68:                              ;   in Loop: Header=BB16_60 Depth=1
	s_set_inst_prefetch_distance 0x2
	s_or_b32 exec_lo, exec_lo, s43
	s_waitcnt lgkmcnt(0)
	s_barrier
	buffer_gl0_inv
	s_and_saveexec_b32 s43, s1
	s_cbranch_execz .LBB16_59
; %bb.69:                               ;   in Loop: Header=BB16_60 Depth=1
	v_mov_b32_e32 v7, v14
	v_mov_b32_e32 v5, v10
	s_mov_b32 s44, 0
	s_branch .LBB16_73
.LBB16_70:                              ;   in Loop: Header=BB16_73 Depth=2
	s_or_b32 exec_lo, exec_lo, s47
.LBB16_71:                              ;   in Loop: Header=BB16_73 Depth=2
	s_delay_alu instid0(SALU_CYCLE_1)
	s_or_b32 exec_lo, exec_lo, s46
	s_waitcnt lgkmcnt(0)
	ds_store_b32 v8, v15
.LBB16_72:                              ;   in Loop: Header=BB16_73 Depth=2
	s_or_b32 exec_lo, exec_lo, s45
	v_add_nc_u32_e32 v5, 32, v5
	v_add_nc_u32_e32 v7, 0x80, v7
	s_delay_alu instid0(VALU_DEP_2) | instskip(NEXT) | instid1(VALU_DEP_1)
	v_cmp_le_i32_e64 s5, s9, v5
	s_or_b32 s44, s5, s44
	s_delay_alu instid0(SALU_CYCLE_1)
	s_and_not1_b32 exec_lo, exec_lo, s44
	s_cbranch_execz .LBB16_59
.LBB16_73:                              ;   Parent Loop BB16_60 Depth=1
                                        ; =>  This Loop Header: Depth=2
                                        ;       Child Loop BB16_77 Depth 3
	s_delay_alu instid0(VALU_DEP_1) | instskip(SKIP_1) | instid1(VALU_DEP_1)
	v_lshlrev_b64 v[15:16], 2, v[5:6]
	s_mov_b32 s45, exec_lo
	v_add_co_u32 v15, s5, s10, v15
	s_delay_alu instid0(VALU_DEP_1)
	v_add_co_ci_u32_e64 v16, s5, s11, v16, s5
	global_load_b32 v8, v[15:16], off
	s_waitcnt vmcnt(0)
	v_cmpx_ne_u32_e32 0, v8
	s_cbranch_execz .LBB16_72
; %bb.74:                               ;   in Loop: Header=BB16_73 Depth=2
	v_lshl_add_u32 v8, v5, 2, 0
	ds_load_b32 v15, v8
	s_and_saveexec_b32 s46, s3
	s_cbranch_execz .LBB16_71
; %bb.75:                               ;   in Loop: Header=BB16_73 Depth=2
	v_mov_b32_e32 v16, v7
	v_dual_mov_b32 v17, v11 :: v_dual_mov_b32 v18, v9
	s_mov_b32 s47, 0
	s_branch .LBB16_77
.LBB16_76:                              ;   in Loop: Header=BB16_77 Depth=3
	s_or_b32 exec_lo, exec_lo, s6
	ds_bpermute_b32 v19, v12, v19
	v_add_nc_u32_e32 v18, 8, v18
	v_add_nc_u32_e32 v17, s29, v17
	;; [unrolled: 1-line block ×3, first 2 shown]
	s_delay_alu instid0(VALU_DEP_3) | instskip(NEXT) | instid1(VALU_DEP_1)
	v_cmp_le_i32_e64 s5, s33, v18
	s_or_b32 s47, s5, s47
	s_waitcnt lgkmcnt(0)
	v_add_nc_u32_e32 v15, v19, v15
	s_and_not1_b32 exec_lo, exec_lo, s47
	s_cbranch_execz .LBB16_70
.LBB16_77:                              ;   Parent Loop BB16_60 Depth=1
                                        ;     Parent Loop BB16_73 Depth=2
                                        ; =>    This Inner Loop Header: Depth=3
	ds_load_b32 v20, v16
	s_waitcnt lgkmcnt(0)
	v_cmp_ne_u32_e64 s5, 0, v20
	s_delay_alu instid0(VALU_DEP_1) | instskip(NEXT) | instid1(VALU_DEP_1)
	v_cndmask_b32_e64 v19, 0, 1, s5
	v_mov_b32_dpp v19, v19 row_shr:1 row_mask:0xf bank_mask:0xf bound_ctrl:1
	s_delay_alu instid0(VALU_DEP_1) | instskip(NEXT) | instid1(VALU_DEP_1)
	v_add_co_ci_u32_e64 v21, s6, 0, v19, s5
	v_mov_b32_dpp v21, v21 row_shr:2 row_mask:0xf bank_mask:0xf bound_ctrl:1
	s_delay_alu instid0(VALU_DEP_1) | instskip(NEXT) | instid1(VALU_DEP_1)
	v_add_co_ci_u32_e64 v19, s6, v21, v19, s5
	v_add_nc_u32_dpp v19, v19, v19 row_shr:4 row_mask:0xf bank_mask:0xf bound_ctrl:1
	s_delay_alu instid0(VALU_DEP_1) | instskip(NEXT) | instid1(VALU_DEP_1)
	v_add_nc_u32_dpp v19, v19, v19 row_shr:8 row_mask:0xf bank_mask:0xf bound_ctrl:1
	v_mov_b32_dpp v21, v19 row_share:7 row_mask:0xf bank_mask:0xf bound_ctrl:1
	s_delay_alu instid0(VALU_DEP_1) | instskip(NEXT) | instid1(VALU_DEP_1)
	v_cndmask_b32_e64 v21, v21, 0, s4
	v_sub_nc_u32_e32 v19, v19, v21
	s_and_saveexec_b32 s6, s5
	s_cbranch_execz .LBB16_76
; %bb.78:                               ;   in Loop: Header=BB16_77 Depth=3
	v_add_nc_u32_e32 v21, v17, v20
	v_add_nc_u32_e32 v23, s42, v18
	s_delay_alu instid0(VALU_DEP_2) | instskip(NEXT) | instid1(VALU_DEP_2)
	v_ashrrev_i32_e32 v22, 31, v21
	v_perm_b32 v23, v20, v23, 0x4020100
	s_delay_alu instid0(VALU_DEP_2) | instskip(NEXT) | instid1(VALU_DEP_2)
	v_lshlrev_b64 v[21:22], 2, v[21:22]
	v_add_nc_u32_e32 v25, 0xff000000, v23
	s_delay_alu instid0(VALU_DEP_2) | instskip(NEXT) | instid1(VALU_DEP_1)
	v_add_co_u32 v21, s5, s25, v21
	v_add_co_ci_u32_e64 v22, s5, s26, v22, s5
	global_load_b32 v24, v[21:22], off
	v_add_nc_u32_e32 v21, v19, v15
	s_delay_alu instid0(VALU_DEP_1) | instskip(NEXT) | instid1(VALU_DEP_1)
	v_ashrrev_i32_e32 v22, 31, v21
	v_lshlrev_b64 v[20:21], 2, v[21:22]
	s_delay_alu instid0(VALU_DEP_1) | instskip(NEXT) | instid1(VALU_DEP_1)
	v_add_co_u32 v22, s5, s22, v20
	v_add_co_ci_u32_e64 v23, s5, s23, v21, s5
	v_add_co_u32 v20, s5, s27, v20
	s_delay_alu instid0(VALU_DEP_1)
	v_add_co_ci_u32_e64 v21, s5, s31, v21, s5
	global_store_b32 v[22:23], v25, off
	s_waitcnt vmcnt(0)
	global_store_b32 v[20:21], v24, off
	s_branch .LBB16_76
.LBB16_79:
	s_and_saveexec_b32 s0, s2
	s_cbranch_execz .LBB16_85
; %bb.80:
	v_mov_b32_e32 v6, 0
	s_and_b32 s0, s8, 0xffffff
	s_lshl_b32 s1, s28, 24
	s_add_i32 s24, s24, 4
	s_or_b32 s1, s1, s0
	s_mov_b32 s2, 0
	s_set_inst_prefetch_distance 0x1
	s_branch .LBB16_82
	.p2align	6
.LBB16_81:                              ;   in Loop: Header=BB16_82 Depth=1
	s_or_b32 exec_lo, exec_lo, s3
	v_add_nc_u32_e32 v0, 0x100, v0
	s_delay_alu instid0(VALU_DEP_1) | instskip(SKIP_1) | instid1(SALU_CYCLE_1)
	v_cmp_le_i32_e32 vcc_lo, s9, v0
	s_or_b32 s2, vcc_lo, s2
	s_and_not1_b32 exec_lo, exec_lo, s2
	s_cbranch_execz .LBB16_85
.LBB16_82:                              ; =>This Loop Header: Depth=1
                                        ;     Child Loop BB16_84 Depth 2
	v_lshlrev_b32_e32 v1, 2, v0
	s_mov_b32 s3, exec_lo
	s_delay_alu instid0(VALU_DEP_1)
	v_add_nc_u32_e32 v2, 0, v1
	v_add_nc_u32_e32 v3, s24, v1
	ds_load_b32 v1, v2
	ds_load_b32 v7, v3
	s_waitcnt lgkmcnt(0)
	v_cmpx_lt_i32_e64 v1, v7
	s_cbranch_execz .LBB16_81
; %bb.83:                               ;   in Loop: Header=BB16_82 Depth=1
	v_ashrrev_i32_e32 v2, 31, v1
	s_mov_b32 s4, 0
	s_delay_alu instid0(VALU_DEP_1) | instskip(NEXT) | instid1(VALU_DEP_1)
	v_lshlrev_b64 v[4:5], 2, v[1:2]
	v_add_co_u32 v2, vcc_lo, s16, v4
	s_delay_alu instid0(VALU_DEP_2)
	v_add_co_ci_u32_e32 v3, vcc_lo, s17, v5, vcc_lo
	v_add_co_u32 v4, vcc_lo, s18, v4
	v_add_co_ci_u32_e32 v5, vcc_lo, s19, v5, vcc_lo
	.p2align	6
.LBB16_84:                              ;   Parent Loop BB16_82 Depth=1
                                        ; =>  This Inner Loop Header: Depth=2
	v_dual_mov_b32 v8, s1 :: v_dual_add_nc_u32 v1, 1, v1
	global_store_b32 v[4:5], v6, off
	v_add_co_u32 v4, vcc_lo, v4, 4
	v_add_co_ci_u32_e32 v5, vcc_lo, 0, v5, vcc_lo
	global_store_b32 v[2:3], v8, off
	v_cmp_ge_i32_e32 vcc_lo, v1, v7
	v_add_co_u32 v2, s0, v2, 4
	s_delay_alu instid0(VALU_DEP_1) | instskip(SKIP_1) | instid1(SALU_CYCLE_1)
	v_add_co_ci_u32_e64 v3, s0, 0, v3, s0
	s_or_b32 s4, vcc_lo, s4
	s_and_not1_b32 exec_lo, exec_lo, s4
	s_cbranch_execnz .LBB16_84
	s_branch .LBB16_81
.LBB16_85:
	s_set_inst_prefetch_distance 0x2
	s_nop 0
	s_sendmsg sendmsg(MSG_DEALLOC_VGPRS)
	s_endpgm
	.section	.rodata,"a",@progbits
	.p2align	6, 0x0
	.amdhsa_kernel _ZN5aiter22opus_moe_sorting_entryINS_16MoeSortingKernelINS_19MoeSortingProblemExIifLi1ELb0ELb1ELb0ELb1ELi0EEEEENS4_5KargsEEEvT0_
		.amdhsa_group_segment_fixed_size 0
		.amdhsa_private_segment_fixed_size 0
		.amdhsa_kernarg_size 400
		.amdhsa_user_sgpr_count 15
		.amdhsa_user_sgpr_dispatch_ptr 0
		.amdhsa_user_sgpr_queue_ptr 0
		.amdhsa_user_sgpr_kernarg_segment_ptr 1
		.amdhsa_user_sgpr_dispatch_id 0
		.amdhsa_user_sgpr_private_segment_size 0
		.amdhsa_wavefront_size32 1
		.amdhsa_uses_dynamic_stack 0
		.amdhsa_enable_private_segment 0
		.amdhsa_system_sgpr_workgroup_id_x 1
		.amdhsa_system_sgpr_workgroup_id_y 0
		.amdhsa_system_sgpr_workgroup_id_z 0
		.amdhsa_system_sgpr_workgroup_info 0
		.amdhsa_system_vgpr_workitem_id 0
		.amdhsa_next_free_vgpr 26
		.amdhsa_next_free_sgpr 48
		.amdhsa_reserve_vcc 1
		.amdhsa_float_round_mode_32 0
		.amdhsa_float_round_mode_16_64 0
		.amdhsa_float_denorm_mode_32 3
		.amdhsa_float_denorm_mode_16_64 3
		.amdhsa_dx10_clamp 1
		.amdhsa_ieee_mode 1
		.amdhsa_fp16_overflow 0
		.amdhsa_workgroup_processor_mode 1
		.amdhsa_memory_ordered 1
		.amdhsa_forward_progress 0
		.amdhsa_shared_vgpr_count 0
		.amdhsa_exception_fp_ieee_invalid_op 0
		.amdhsa_exception_fp_denorm_src 0
		.amdhsa_exception_fp_ieee_div_zero 0
		.amdhsa_exception_fp_ieee_overflow 0
		.amdhsa_exception_fp_ieee_underflow 0
		.amdhsa_exception_fp_ieee_inexact 0
		.amdhsa_exception_int_div_zero 0
	.end_amdhsa_kernel
	.section	.text._ZN5aiter22opus_moe_sorting_entryINS_16MoeSortingKernelINS_19MoeSortingProblemExIifLi1ELb0ELb1ELb0ELb1ELi0EEEEENS4_5KargsEEEvT0_,"axG",@progbits,_ZN5aiter22opus_moe_sorting_entryINS_16MoeSortingKernelINS_19MoeSortingProblemExIifLi1ELb0ELb1ELb0ELb1ELi0EEEEENS4_5KargsEEEvT0_,comdat
.Lfunc_end16:
	.size	_ZN5aiter22opus_moe_sorting_entryINS_16MoeSortingKernelINS_19MoeSortingProblemExIifLi1ELb0ELb1ELb0ELb1ELi0EEEEENS4_5KargsEEEvT0_, .Lfunc_end16-_ZN5aiter22opus_moe_sorting_entryINS_16MoeSortingKernelINS_19MoeSortingProblemExIifLi1ELb0ELb1ELb0ELb1ELi0EEEEENS4_5KargsEEEvT0_
                                        ; -- End function
	.section	.AMDGPU.csdata,"",@progbits
; Kernel info:
; codeLenInByte = 3920
; NumSgprs: 50
; NumVgprs: 26
; ScratchSize: 0
; MemoryBound: 0
; FloatMode: 240
; IeeeMode: 1
; LDSByteSize: 0 bytes/workgroup (compile time only)
; SGPRBlocks: 6
; VGPRBlocks: 3
; NumSGPRsForWavesPerEU: 50
; NumVGPRsForWavesPerEU: 26
; Occupancy: 16
; WaveLimiterHint : 1
; COMPUTE_PGM_RSRC2:SCRATCH_EN: 0
; COMPUTE_PGM_RSRC2:USER_SGPR: 15
; COMPUTE_PGM_RSRC2:TRAP_HANDLER: 0
; COMPUTE_PGM_RSRC2:TGID_X_EN: 1
; COMPUTE_PGM_RSRC2:TGID_Y_EN: 0
; COMPUTE_PGM_RSRC2:TGID_Z_EN: 0
; COMPUTE_PGM_RSRC2:TIDIG_COMP_CNT: 0
	.section	.text._ZN5aiter22opus_moe_sorting_entryINS_16MoeSortingKernelINS_19MoeSortingProblemExIifLi8ELb1ELb0ELb1ELb1ELi0EEEEENS4_5KargsEEEvT0_,"axG",@progbits,_ZN5aiter22opus_moe_sorting_entryINS_16MoeSortingKernelINS_19MoeSortingProblemExIifLi8ELb1ELb0ELb1ELb1ELi0EEEEENS4_5KargsEEEvT0_,comdat
	.protected	_ZN5aiter22opus_moe_sorting_entryINS_16MoeSortingKernelINS_19MoeSortingProblemExIifLi8ELb1ELb0ELb1ELb1ELi0EEEEENS4_5KargsEEEvT0_ ; -- Begin function _ZN5aiter22opus_moe_sorting_entryINS_16MoeSortingKernelINS_19MoeSortingProblemExIifLi8ELb1ELb0ELb1ELb1ELi0EEEEENS4_5KargsEEEvT0_
	.globl	_ZN5aiter22opus_moe_sorting_entryINS_16MoeSortingKernelINS_19MoeSortingProblemExIifLi8ELb1ELb0ELb1ELb1ELi0EEEEENS4_5KargsEEEvT0_
	.p2align	8
	.type	_ZN5aiter22opus_moe_sorting_entryINS_16MoeSortingKernelINS_19MoeSortingProblemExIifLi8ELb1ELb0ELb1ELb1ELi0EEEEENS4_5KargsEEEvT0_,@function
_ZN5aiter22opus_moe_sorting_entryINS_16MoeSortingKernelINS_19MoeSortingProblemExIifLi8ELb1ELb0ELb1ELb1ELi0EEEEENS4_5KargsEEEvT0_: ; @_ZN5aiter22opus_moe_sorting_entryINS_16MoeSortingKernelINS_19MoeSortingProblemExIifLi8ELb1ELb0ELb1ELb1ELi0EEEEENS4_5KargsEEEvT0_
; %bb.0:
	s_clause 0x3
	s_load_b256 s[16:23], s[0:1], 0x18
	s_load_b128 s[40:43], s[0:1], 0x38
	s_load_b64 s[10:11], s[0:1], 0x48
	s_load_b128 s[36:39], s[0:1], 0x54
	s_cmp_eq_u32 s15, 0
	s_waitcnt lgkmcnt(0)
	s_load_b32 s16, s[16:17], 0x0
	s_cbranch_scc1 .LBB17_7
; %bb.1:
	s_cmp_eq_u64 s[42:43], 0
	s_cbranch_scc1 .LBB17_6
; %bb.2:
	s_waitcnt lgkmcnt(0)
	s_ashr_i32 s2, s16, 31
	s_mul_i32 s3, s38, s37
	s_mul_hi_i32 s5, s38, s37
	s_mul_i32 s2, s3, s2
	s_mul_hi_u32 s4, s3, s16
	s_mul_i32 s5, s5, s16
	s_add_i32 s2, s4, s2
	s_mul_i32 s3, s3, s16
	s_add_i32 s4, s2, s5
	v_mov_b32_e32 v2, 0
	s_ashr_i32 s2, s4, 31
	s_mov_b32 s7, 0
	s_lshr_b32 s2, s2, 28
	s_delay_alu instid0(SALU_CYCLE_1) | instskip(SKIP_2) | instid1(SALU_CYCLE_1)
	s_add_u32 s2, s3, s2
	s_addc_u32 s3, s4, 0
	s_lshl_b32 s4, s15, 8
	v_add3_u32 v1, v0, s4, 0xffffff00
	s_ashr_i64 s[4:5], s[2:3], 4
	s_mov_b32 s3, exec_lo
	s_delay_alu instid0(VALU_DEP_1)
	v_cmpx_gt_i64_e64 s[4:5], v[1:2]
	s_cbranch_execz .LBB17_5
; %bb.3:
	s_load_b32 s2, s[0:1], 0x90
	v_lshlrev_b64 v[3:4], 4, v[1:2]
	v_dual_mov_b32 v6, v2 :: v_dual_mov_b32 v5, v1
	v_mov_b32_e32 v1, v2
	s_delay_alu instid0(VALU_DEP_3) | instskip(NEXT) | instid1(VALU_DEP_4)
	v_add_co_u32 v7, vcc_lo, s42, v3
	v_add_co_ci_u32_e32 v8, vcc_lo, s43, v4, vcc_lo
	v_mov_b32_e32 v3, v2
	v_mov_b32_e32 v4, v2
	s_waitcnt lgkmcnt(0)
	s_lshl_b32 s2, s2, 8
	s_delay_alu instid0(SALU_CYCLE_1) | instskip(NEXT) | instid1(SALU_CYCLE_1)
	s_add_i32 s6, s2, 0xffffff00
	s_lshl_b64 s[8:9], s[6:7], 4
.LBB17_4:                               ; =>This Inner Loop Header: Depth=1
	v_add_co_u32 v5, vcc_lo, v5, s6
	v_add_co_ci_u32_e32 v6, vcc_lo, 0, v6, vcc_lo
	global_store_b128 v[7:8], v[1:4], off
	v_add_co_u32 v7, s2, v7, s8
	v_cmp_le_i64_e32 vcc_lo, s[4:5], v[5:6]
	v_add_co_ci_u32_e64 v8, s2, s9, v8, s2
	s_or_b32 s7, vcc_lo, s7
	s_delay_alu instid0(SALU_CYCLE_1)
	s_and_not1_b32 exec_lo, exec_lo, s7
	s_cbranch_execnz .LBB17_4
.LBB17_5:
	s_or_b32 exec_lo, exec_lo, s3
.LBB17_6:
	s_cbranch_execz .LBB17_8
	s_branch .LBB17_67
.LBB17_7:
.LBB17_8:
	s_clause 0x1
	s_load_b256 s[24:31], s[0:1], 0x64
	s_load_b64 s[2:3], s[0:1], 0x84
	v_lshrrev_b32_e32 v1, 5, v0
	s_add_i32 s8, s36, 1
	s_mov_b32 s12, exec_lo
	s_delay_alu instid0(VALU_DEP_1) | instskip(SKIP_2) | instid1(SALU_CYCLE_1)
	v_readfirstlane_b32 s34, v1
	s_waitcnt lgkmcnt(0)
	s_add_i32 s17, s24, -2
	s_mul_i32 s9, s17, s36
	s_delay_alu instid0(SALU_CYCLE_1)
	v_cmpx_gt_i32_e64 s9, v0
	s_cbranch_execz .LBB17_11
; %bb.9:
	v_dual_mov_b32 v4, 0 :: v_dual_lshlrev_b32 v3, 2, v0
	s_lshl_b32 s4, s36, 3
	v_mad_u64_u32 v[1:2], null, v0, s2, 0
	s_add_i32 s4, s4, 0
	v_mov_b32_e32 v5, v0
	v_add3_u32 v3, s4, v3, 8
	s_mov_b32 s5, 0
	s_sub_i32 s6, s8, s31
	s_mov_b32 s4, s2
	s_lshl_b32 s13, s6, 2
	s_lshl_b64 s[6:7], s[4:5], 8
	.p2align	6
.LBB17_10:                              ; =>This Inner Loop Header: Depth=1
	v_add_nc_u32_e32 v6, v5, v2
	v_add_nc_u32_e32 v5, 0x100, v5
	v_add_co_u32 v1, vcc_lo, v1, s6
	v_add_co_ci_u32_e32 v2, vcc_lo, s7, v2, vcc_lo
	s_delay_alu instid0(VALU_DEP_4) | instskip(NEXT) | instid1(VALU_DEP_4)
	v_lshrrev_b32_e32 v8, s3, v6
	v_cmp_le_i32_e64 s2, s9, v5
	s_delay_alu instid0(VALU_DEP_2) | instskip(SKIP_1) | instid1(VALU_DEP_3)
	v_mad_u64_u32 v[6:7], null, s13, v8, v[3:4]
	v_add_nc_u32_e32 v3, 0x400, v3
	s_or_b32 s5, s2, s5
	ds_store_b32 v6, v4
	s_and_not1_b32 exec_lo, exec_lo, s5
	s_cbranch_execnz .LBB17_10
.LBB17_11:
	s_or_b32 exec_lo, exec_lo, s12
	s_load_b128 s[12:15], s[0:1], 0x0
	s_cmp_gt_i32 s16, 0
	s_mov_b32 s3, 0
	s_cselect_b32 s33, -1, 0
	s_cmp_lt_i32 s16, 1
	s_mul_i32 s31, s28, s17
	s_waitcnt lgkmcnt(0)
	s_waitcnt_vscnt null, 0x0
	s_barrier
	buffer_gl0_inv
	s_cbranch_scc1 .LBB17_19
; %bb.12:
	v_mad_u64_u32 v[1:2], null, v0, s29, 0
	v_cmp_gt_i32_e32 vcc_lo, s31, v0
	v_mov_b32_e32 v4, 0
	s_lshl_b32 s0, s8, 3
	s_mov_b32 s2, s29
	s_add_i32 s6, s0, 0
	s_sub_i32 s7, 0, s28
	s_lshl_b64 s[4:5], s[2:3], 8
	s_mov_b32 s2, 0
	s_branch .LBB17_14
.LBB17_13:                              ;   in Loop: Header=BB17_14 Depth=1
	s_set_inst_prefetch_distance 0x2
	s_or_b32 exec_lo, exec_lo, s9
	s_add_i32 s2, s2, s17
	s_add_i32 s3, s3, s31
	s_cmp_ge_i32 s2, s16
	s_waitcnt lgkmcnt(0)
	s_barrier
	buffer_gl0_inv
	s_cbranch_scc1 .LBB17_19
.LBB17_14:                              ; =>This Loop Header: Depth=1
                                        ;     Child Loop BB17_17 Depth 2
	s_and_saveexec_b32 s9, vcc_lo
	s_cbranch_execz .LBB17_13
; %bb.15:                               ;   in Loop: Header=BB17_14 Depth=1
	v_dual_mov_b32 v6, v2 :: v_dual_mov_b32 v5, v1
	v_mov_b32_e32 v7, v0
	s_mov_b32 s29, 0
	s_set_inst_prefetch_distance 0x1
	s_branch .LBB17_17
	.p2align	6
.LBB17_16:                              ;   in Loop: Header=BB17_17 Depth=2
	s_or_b32 exec_lo, exec_lo, s1
	v_add_nc_u32_e32 v7, 0x100, v7
	v_add_co_u32 v5, s1, v5, s4
	s_delay_alu instid0(VALU_DEP_1) | instskip(NEXT) | instid1(VALU_DEP_3)
	v_add_co_ci_u32_e64 v6, s1, s5, v6, s1
	v_cmp_le_i32_e64 s0, s31, v7
	s_waitcnt vmcnt(48) lgkmcnt(7)
	s_delay_alu instid0(VALU_DEP_1) | instskip(NEXT) | instid1(SALU_CYCLE_1)
	s_or_b32 s29, s0, s29
	s_and_not1_b32 exec_lo, exec_lo, s29
	s_cbranch_execz .LBB17_13
.LBB17_17:                              ;   Parent Loop BB17_14 Depth=1
                                        ; =>  This Inner Loop Header: Depth=2
	s_delay_alu instid0(VALU_DEP_1) | instskip(SKIP_1) | instid1(VALU_DEP_1)
	v_add_nc_u32_e32 v3, v7, v6
	s_mov_b32 s1, exec_lo
	v_lshrrev_b32_e32 v8, s30, v3
	s_delay_alu instid0(VALU_DEP_1) | instskip(NEXT) | instid1(VALU_DEP_1)
	v_add_nc_u32_e32 v3, s2, v8
	v_cmpx_gt_i32_e64 s16, v3
	s_cbranch_execz .LBB17_16
; %bb.18:                               ;   in Loop: Header=BB17_17 Depth=2
	v_add_nc_u32_e32 v3, s3, v7
	s_delay_alu instid0(VALU_DEP_1) | instskip(NEXT) | instid1(VALU_DEP_1)
	v_lshlrev_b64 v[9:10], 2, v[3:4]
	v_add_co_u32 v9, s0, s12, v9
	s_delay_alu instid0(VALU_DEP_1) | instskip(SKIP_3) | instid1(VALU_DEP_2)
	v_add_co_ci_u32_e64 v10, s0, s13, v10, s0
	global_load_b32 v3, v[9:10], off
	v_mul_lo_u32 v9, v8, s8
	v_mul_lo_u32 v8, s7, v8
	v_lshlrev_b32_e32 v9, 2, v9
	s_delay_alu instid0(VALU_DEP_2) | instskip(SKIP_2) | instid1(VALU_DEP_1)
	v_add3_u32 v8, v7, v8, 1
	s_waitcnt vmcnt(0)
	v_lshlrev_b32_e32 v3, 2, v3
	v_add3_u32 v3, s6, v3, v9
	ds_store_b32 v3, v8
	s_branch .LBB17_16
.LBB17_19:
	s_mov_b32 s0, exec_lo
	v_cmpx_eq_u32_e32 0, v0
	s_cbranch_execz .LBB17_21
; %bb.20:
	v_mov_b32_e32 v1, 0
	ds_store_b32 v1, v1
.LBB17_21:
	s_or_b32 exec_lo, exec_lo, s0
	v_and_b32_e32 v5, 7, v0
	v_lshrrev_b32_e32 v6, 3, v0
	v_mbcnt_lo_u32_b32 v9, -1, 0
	s_mov_b32 s30, 0
	s_delay_alu instid0(VALU_DEP_3) | instskip(NEXT) | instid1(VALU_DEP_3)
	v_mul_lo_u32 v1, s8, v5
	v_cmp_gt_i32_e64 s0, s36, v6
	v_lshlrev_b32_e32 v8, 2, v6
	s_delay_alu instid0(VALU_DEP_3) | instskip(NEXT) | instid1(VALU_DEP_3)
	v_lshlrev_b32_e32 v7, 2, v1
	s_and_saveexec_b32 s29, s0
	s_cbranch_execz .LBB17_29
; %bb.22:
	s_cmp_gt_i32 s24, 2
	v_dual_mov_b32 v10, v6 :: v_dual_lshlrev_b32 v3, 2, v9
	s_cselect_b32 s24, -1, 0
	s_lshl_b32 s1, s36, 3
	s_lshl_b32 s37, s36, 8
	v_add3_u32 v4, v7, s1, v8
	v_cmp_eq_u32_e64 s1, 0, v5
	v_xor_b32_e32 v1, 4, v3
	v_xor_b32_e32 v2, 8, v3
	;; [unrolled: 1-line block ×3, first 2 shown]
	v_add3_u32 v4, v4, 0, 8
	s_lshl_b32 s35, s36, 5
	s_addk_i32 s37, 0x100
	s_add_i32 s38, s35, 32
	s_branch .LBB17_24
.LBB17_23:                              ;   in Loop: Header=BB17_24 Depth=1
	s_or_b32 exec_lo, exec_lo, s2
	v_add_nc_u32_e32 v10, 32, v10
	v_add_nc_u32_e32 v4, 0x80, v4
	s_delay_alu instid0(VALU_DEP_2) | instskip(SKIP_1) | instid1(SALU_CYCLE_1)
	v_cmp_le_i32_e32 vcc_lo, s36, v10
	s_or_b32 s30, vcc_lo, s30
	s_and_not1_b32 exec_lo, exec_lo, s30
	s_cbranch_execz .LBB17_29
.LBB17_24:                              ; =>This Loop Header: Depth=1
                                        ;     Child Loop BB17_26 Depth 2
	v_mov_b32_e32 v11, 0
	s_and_not1_b32 vcc_lo, exec_lo, s24
	s_cbranch_vccnz .LBB17_27
; %bb.25:                               ;   in Loop: Header=BB17_24 Depth=1
	v_dual_mov_b32 v11, 0 :: v_dual_mov_b32 v12, v4
	s_mov_b32 s39, 0
.LBB17_26:                              ;   Parent Loop BB17_24 Depth=1
                                        ; =>  This Inner Loop Header: Depth=2
	s_delay_alu instid0(VALU_DEP_1) | instskip(SKIP_2) | instid1(SALU_CYCLE_1)
	v_add_nc_u32_e32 v13, s35, v12
	ds_load_b32 v14, v12
	s_add_i32 s39, s39, 64
	s_cmp_lt_i32 s39, s17
	v_add_nc_u32_e32 v15, s38, v13
	ds_load_b32 v13, v13 offset:32
	v_add_nc_u32_e32 v16, s38, v15
	ds_load_b32 v15, v15 offset:32
	;; [unrolled: 2-line block ×3, first 2 shown]
	v_add_nc_u32_e32 v12, s37, v12
	v_add_nc_u32_e32 v18, s38, v17
	s_waitcnt lgkmcnt(3)
	v_cmp_ne_u32_e32 vcc_lo, 0, v14
	ds_load_b32 v17, v17 offset:32
	ds_load_b32 v19, v18 offset:32
	v_add_nc_u32_e32 v18, s38, v18
	v_cndmask_b32_e64 v14, 0, 1, vcc_lo
	s_waitcnt lgkmcnt(4)
	v_cmp_ne_u32_e64 s2, 0, v13
	ds_load_b32 v20, v18 offset:32
	ds_bpermute_b32 v14, v1, v14
	v_cndmask_b32_e64 v13, 0, 1, s2
	s_waitcnt lgkmcnt(5)
	v_cmp_ne_u32_e64 s3, 0, v15
	v_add_nc_u32_e32 v18, s38, v18
	s_waitcnt lgkmcnt(4)
	v_cmp_ne_u32_e64 s4, 0, v16
	ds_bpermute_b32 v13, v1, v13
	v_cndmask_b32_e64 v15, 0, 1, s3
	ds_load_b32 v18, v18 offset:32
	v_cndmask_b32_e64 v16, 0, 1, s4
	ds_bpermute_b32 v15, v1, v15
	s_waitcnt lgkmcnt(6)
	v_cmp_ne_u32_e64 s5, 0, v17
	ds_bpermute_b32 v16, v1, v16
	v_cndmask_b32_e64 v17, 0, 1, s5
	s_waitcnt lgkmcnt(4)
	v_add_co_ci_u32_e64 v21, s6, 0, v14, vcc_lo
	v_cmp_ne_u32_e64 s6, 0, v19
	ds_bpermute_b32 v17, v1, v17
	ds_bpermute_b32 v21, v2, v21
	s_waitcnt lgkmcnt(5)
	v_add_co_ci_u32_e64 v22, s7, 0, v13, s2
	v_cndmask_b32_e64 v19, 0, 1, s6
	v_cmp_ne_u32_e64 s7, 0, v20
	ds_bpermute_b32 v22, v2, v22
	s_waitcnt lgkmcnt(4)
	v_add_co_ci_u32_e64 v23, s8, 0, v15, s3
	v_cndmask_b32_e64 v20, 0, 1, s7
	ds_bpermute_b32 v19, v1, v19
	v_cmp_ne_u32_e64 s8, 0, v18
	ds_bpermute_b32 v23, v2, v23
	s_waitcnt lgkmcnt(5)
	v_add_co_ci_u32_e64 v24, s9, 0, v16, s4
	ds_bpermute_b32 v20, v1, v20
	v_cndmask_b32_e64 v18, 0, 1, s8
	s_waitcnt lgkmcnt(5)
	v_add_co_ci_u32_e64 v25, s9, 0, v17, s5
	ds_bpermute_b32 v24, v2, v24
	ds_bpermute_b32 v18, v1, v18
	s_waitcnt lgkmcnt(6)
	v_add_co_ci_u32_e32 v14, vcc_lo, v21, v14, vcc_lo
	ds_bpermute_b32 v21, v2, v25
	s_waitcnt lgkmcnt(6)
	v_add_co_ci_u32_e64 v13, vcc_lo, v22, v13, s2
	ds_bpermute_b32 v22, v3, v14
	s_waitcnt lgkmcnt(6)
	v_add_co_ci_u32_e64 v25, vcc_lo, 0, v19, s6
	;; [unrolled: 3-line block ×3, first 2 shown]
	s_waitcnt lgkmcnt(5)
	v_add_co_ci_u32_e64 v26, vcc_lo, 0, v20, s7
	ds_bpermute_b32 v25, v2, v25
	ds_bpermute_b32 v28, v3, v15
	;; [unrolled: 1-line block ×3, first 2 shown]
	s_waitcnt lgkmcnt(6)
	v_add_co_ci_u32_e64 v26, vcc_lo, 0, v18, s8
	v_add_co_ci_u32_e64 v16, vcc_lo, v24, v16, s4
	s_waitcnt lgkmcnt(5)
	v_add_co_ci_u32_e64 v17, vcc_lo, v21, v17, s5
	ds_bpermute_b32 v24, v2, v26
	ds_bpermute_b32 v21, v3, v16
	s_waitcnt lgkmcnt(6)
	v_add3_u32 v11, v14, v11, v22
	ds_bpermute_b32 v14, v3, v17
	s_waitcnt lgkmcnt(6)
	v_add3_u32 v11, v11, v13, v27
	s_waitcnt lgkmcnt(5)
	v_add_co_ci_u32_e64 v19, vcc_lo, v25, v19, s6
	s_waitcnt lgkmcnt(4)
	s_delay_alu instid0(VALU_DEP_2)
	v_add3_u32 v11, v11, v15, v28
	s_waitcnt lgkmcnt(3)
	v_add_co_ci_u32_e64 v13, vcc_lo, v23, v20, s7
	ds_bpermute_b32 v20, v3, v19
	ds_bpermute_b32 v15, v3, v13
	s_waitcnt lgkmcnt(4)
	v_add_co_ci_u32_e64 v18, vcc_lo, v24, v18, s8
	s_waitcnt lgkmcnt(3)
	v_add3_u32 v11, v11, v16, v21
	ds_bpermute_b32 v16, v3, v18
	s_waitcnt lgkmcnt(3)
	v_add3_u32 v11, v11, v17, v14
	s_waitcnt lgkmcnt(2)
	s_delay_alu instid0(VALU_DEP_1) | instskip(SKIP_1) | instid1(VALU_DEP_1)
	v_add3_u32 v11, v11, v19, v20
	s_waitcnt lgkmcnt(1)
	v_add3_u32 v11, v11, v13, v15
	s_waitcnt lgkmcnt(0)
	s_delay_alu instid0(VALU_DEP_1)
	v_add3_u32 v11, v11, v18, v16
	s_cbranch_scc1 .LBB17_26
.LBB17_27:                              ;   in Loop: Header=BB17_24 Depth=1
	s_and_saveexec_b32 s2, s1
	s_cbranch_execz .LBB17_23
; %bb.28:                               ;   in Loop: Header=BB17_24 Depth=1
	v_lshl_add_u32 v12, v10, 2, 0
	ds_store_b32 v12, v11 offset:4
	s_branch .LBB17_23
.LBB17_29:
	s_or_b32 exec_lo, exec_lo, s29
	s_cmp_lg_u32 s34, 0
	s_mov_b32 s3, 0
	s_waitcnt lgkmcnt(0)
	s_barrier
	buffer_gl0_inv
	s_cbranch_scc1 .LBB17_38
; %bb.30:
	v_mov_b32_e32 v1, 0
	s_cmp_lt_i32 s36, 1
	s_cbranch_scc1 .LBB17_35
; %bb.31:
	v_lshlrev_b32_e32 v1, 2, v9
	v_cmp_eq_u32_e32 vcc_lo, 0, v9
	v_cmp_lt_u32_e64 s1, 15, v9
	s_add_i32 s4, s25, -1
	s_delay_alu instid0(VALU_DEP_3) | instskip(SKIP_1) | instid1(VALU_DEP_2)
	v_and_b32_e32 v2, 64, v1
	v_add3_u32 v3, v1, 0, 4
	v_add_nc_u32_e32 v2, -4, v2
	s_set_inst_prefetch_distance 0x1
	s_branch .LBB17_33
	.p2align	6
.LBB17_32:                              ;   in Loop: Header=BB17_33 Depth=1
	s_or_b32 exec_lo, exec_lo, s5
	v_add_nc_u32_e32 v3, 0x80, v3
	s_add_i32 s3, s3, 32
	s_waitcnt vmcnt(48) lgkmcnt(7)
	s_cmp_lt_i32 s3, s36
	s_cbranch_scc0 .LBB17_35
.LBB17_33:                              ; =>This Inner Loop Header: Depth=1
	ds_load_b32 v1, v3
	v_cndmask_b32_e64 v4, 0, s3, vcc_lo
	s_mov_b32 s5, exec_lo
	s_delay_alu instid0(VALU_DEP_1) | instskip(SKIP_4) | instid1(VALU_DEP_1)
	v_lshl_add_u32 v4, v4, 2, 0
	s_waitcnt lgkmcnt(0)
	v_add_nc_u32_e32 v10, s4, v1
	ds_load_b32 v1, v4
	v_mul_hi_u32 v4, v10, s26
	v_add_nc_u32_e32 v4, v10, v4
	s_delay_alu instid0(VALU_DEP_1) | instskip(SKIP_1) | instid1(VALU_DEP_1)
	v_lshrrev_b32_e32 v4, s27, v4
	s_waitcnt lgkmcnt(0)
	v_mad_u64_u32 v[10:11], null, v4, s25, v[1:2]
	s_delay_alu instid0(VALU_DEP_1) | instskip(SKIP_1) | instid1(VALU_DEP_2)
	v_add_nc_u32_dpp v1, v10, v10 row_shr:1 row_mask:0xf bank_mask:0xf bound_ctrl:1
	v_add_nc_u32_e32 v10, s3, v9
	v_add_nc_u32_dpp v1, v1, v1 row_shr:2 row_mask:0xf bank_mask:0xf bound_ctrl:1
	s_delay_alu instid0(VALU_DEP_1) | instskip(NEXT) | instid1(VALU_DEP_1)
	v_add_nc_u32_dpp v1, v1, v1 row_shr:4 row_mask:0xf bank_mask:0xf bound_ctrl:1
	v_add_nc_u32_dpp v1, v1, v1 row_shr:8 row_mask:0xf bank_mask:0xf bound_ctrl:1
	ds_bpermute_b32 v4, v2, v1
	s_waitcnt lgkmcnt(0)
	v_cndmask_b32_e64 v4, 0, v4, s1
	s_delay_alu instid0(VALU_DEP_1)
	v_add_nc_u32_e32 v1, v1, v4
	v_cmpx_gt_i32_e64 s36, v10
	s_cbranch_execz .LBB17_32
; %bb.34:                               ;   in Loop: Header=BB17_33 Depth=1
	ds_store_b32 v3, v1
	s_branch .LBB17_32
.LBB17_35:
	s_set_inst_prefetch_distance 0x2
	v_add3_u32 v2, v9, s3, 0xffffffe1
	s_mov_b32 s1, exec_lo
	s_delay_alu instid0(VALU_DEP_1)
	v_cmpx_eq_u32_e64 s36, v2
	s_cbranch_execz .LBB17_37
; %bb.36:
	v_dual_mov_b32 v3, 0 :: v_dual_mov_b32 v2, s16
	global_store_b64 v3, v[1:2], s[40:41]
.LBB17_37:
	s_or_b32 exec_lo, exec_lo, s1
.LBB17_38:
	s_cmp_eq_u64 s[10:11], 0
	s_waitcnt lgkmcnt(0)
	s_waitcnt_vscnt null, 0x0
	s_barrier
	buffer_gl0_inv
	s_cbranch_scc1 .LBB17_43
; %bb.39:
	s_mul_i32 s2, s16, s28
	s_mov_b32 s3, exec_lo
	v_cmpx_gt_i32_e64 s2, v0
	s_cbranch_execz .LBB17_42
; %bb.40:
	v_dual_mov_b32 v10, v0 :: v_dual_lshlrev_b32 v3, 2, v0
	s_mov_b32 s4, 0
	s_delay_alu instid0(VALU_DEP_1) | instskip(NEXT) | instid1(VALU_DEP_1)
	v_add_co_u32 v1, s1, s12, v3
	v_add_co_ci_u32_e64 v2, null, s13, 0, s1
	v_add_co_u32 v3, s1, s10, v3
	s_delay_alu instid0(VALU_DEP_1)
	v_add_co_ci_u32_e64 v4, null, s11, 0, s1
	.p2align	6
.LBB17_41:                              ; =>This Inner Loop Header: Depth=1
	global_load_b32 v11, v[1:2], off
	v_add_nc_u32_e32 v10, 0x100, v10
	v_add_co_u32 v1, vcc_lo, 0x400, v1
	v_add_co_ci_u32_e32 v2, vcc_lo, 0, v2, vcc_lo
	s_delay_alu instid0(VALU_DEP_3) | instskip(SKIP_4) | instid1(VALU_DEP_1)
	v_cmp_le_i32_e32 vcc_lo, s2, v10
	s_or_b32 s4, vcc_lo, s4
	s_waitcnt vmcnt(0)
	global_store_b32 v[3:4], v11, off
	v_add_co_u32 v3, s1, 0x400, v3
	v_add_co_ci_u32_e64 v4, s1, 0, v4, s1
	s_and_not1_b32 exec_lo, exec_lo, s4
	s_cbranch_execnz .LBB17_41
.LBB17_42:
	s_or_b32 exec_lo, exec_lo, s3
	s_waitcnt_vscnt null, 0x0
	s_barrier
	buffer_gl0_inv
.LBB17_43:
	s_lshl_b32 s3, s36, 2
	v_cmp_gt_i32_e64 s1, s36, v0
	s_add_i32 s4, s3, 0
	s_mov_b32 s6, 0
	s_add_i32 s5, s4, 4
	s_delay_alu instid0(VALU_DEP_1)
	s_and_saveexec_b32 s7, s1
	s_cbranch_execz .LBB17_49
; %bb.44:
	v_mov_b32_e32 v2, 0
	v_mov_b32_e32 v10, v0
	s_set_inst_prefetch_distance 0x1
	s_branch .LBB17_46
	.p2align	6
.LBB17_45:                              ;   in Loop: Header=BB17_46 Depth=1
	s_or_b32 exec_lo, exec_lo, s8
	v_add_nc_u32_e32 v10, 0x100, v10
	s_delay_alu instid0(VALU_DEP_1) | instskip(SKIP_1) | instid1(SALU_CYCLE_1)
	v_cmp_le_i32_e32 vcc_lo, s36, v10
	s_or_b32 s6, vcc_lo, s6
	s_and_not1_b32 exec_lo, exec_lo, s6
	s_cbranch_execz .LBB17_49
.LBB17_46:                              ; =>This Loop Header: Depth=1
                                        ;     Child Loop BB17_48 Depth 2
	s_delay_alu instid0(VALU_DEP_1) | instskip(SKIP_1) | instid1(VALU_DEP_1)
	v_lshlrev_b32_e32 v1, 2, v10
	s_mov_b32 s8, exec_lo
	v_add_nc_u32_e32 v3, 0, v1
	v_add_nc_u32_e32 v1, s5, v1
	ds_load_2addr_b32 v[3:4], v3 offset1:1
	s_waitcnt lgkmcnt(0)
	ds_store_b32 v1, v3
	v_cmpx_lt_i32_e64 v3, v4
	s_cbranch_execz .LBB17_45
; %bb.47:                               ;   in Loop: Header=BB17_46 Depth=1
	s_mov_b32 s9, 0
	.p2align	6
.LBB17_48:                              ;   Parent Loop BB17_46 Depth=1
                                        ; =>  This Inner Loop Header: Depth=2
	v_mul_hi_u32 v1, s26, v3
	s_delay_alu instid0(VALU_DEP_1) | instskip(SKIP_1) | instid1(VALU_DEP_2)
	v_add_nc_u32_e32 v1, v3, v1
	v_add_nc_u32_e32 v3, s25, v3
	v_lshrrev_b32_e32 v1, s27, v1
	s_delay_alu instid0(VALU_DEP_2) | instskip(NEXT) | instid1(VALU_DEP_2)
	v_cmp_ge_i32_e32 vcc_lo, v3, v4
	v_lshlrev_b64 v[11:12], 2, v[1:2]
	s_or_b32 s9, vcc_lo, s9
	s_delay_alu instid0(VALU_DEP_1) | instskip(NEXT) | instid1(VALU_DEP_1)
	v_add_co_u32 v11, s2, s22, v11
	v_add_co_ci_u32_e64 v12, s2, s23, v12, s2
	global_store_b32 v[11:12], v10, off
	s_and_not1_b32 exec_lo, exec_lo, s9
	s_cbranch_execnz .LBB17_48
	s_branch .LBB17_45
.LBB17_49:
	s_set_inst_prefetch_distance 0x2
	s_or_b32 exec_lo, exec_lo, s7
	s_add_i32 s2, s4, s3
	s_delay_alu instid0(SALU_CYCLE_1)
	v_dual_mov_b32 v1, s4 :: v_dual_mov_b32 v2, s2
	s_waitcnt lgkmcnt(0)
	s_waitcnt_vscnt null, 0x0
	s_barrier
	buffer_gl0_inv
	ds_load_b32 v1, v1
	s_and_not1_b32 vcc_lo, exec_lo, s33
	s_waitcnt lgkmcnt(0)
	ds_store_b32 v2, v1 offset:4
	s_cbranch_vccnz .LBB17_61
; %bb.50:
	s_add_u32 s6, s18, -4
	s_addc_u32 s7, s19, -1
	s_add_u32 s8, s14, -4
	s_addc_u32 s9, s15, -1
	;; [unrolled: 2-line block ×3, first 2 shown]
	s_lshl_b32 s2, s36, 3
	v_and_b32_e32 v2, 8, v9
	v_add3_u32 v3, v7, s2, v8
	v_mul_lo_u32 v1, s28, v5
	v_cmp_gt_i32_e32 vcc_lo, s17, v5
	s_lshl_b32 s14, s36, 5
	v_cmp_eq_u32_e64 s2, 0, v2
	v_lshl_or_b32 v2, v0, 2, 28
	v_add3_u32 v3, v3, 0, 8
	s_mov_b32 s12, 0
	s_lshl_b32 s13, s28, 3
	s_add_i32 s14, s14, 32
	s_branch .LBB17_52
.LBB17_51:                              ;   in Loop: Header=BB17_52 Depth=1
	s_or_b32 exec_lo, exec_lo, s15
	v_add_nc_u32_e32 v1, s31, v1
	s_add_i32 s12, s12, s17
	s_waitcnt lgkmcnt(0)
	s_waitcnt_vscnt null, 0x0
	s_cmp_ge_i32 s12, s16
	s_barrier
	buffer_gl0_inv
	s_cbranch_scc1 .LBB17_61
.LBB17_52:                              ; =>This Loop Header: Depth=1
                                        ;     Child Loop BB17_56 Depth 2
                                        ;       Child Loop BB17_59 Depth 3
	s_and_saveexec_b32 s15, s0
	s_cbranch_execz .LBB17_51
; %bb.53:                               ;   in Loop: Header=BB17_52 Depth=1
	v_dual_mov_b32 v4, v3 :: v_dual_mov_b32 v7, v6
	s_mov_b32 s22, 0
	s_branch .LBB17_56
.LBB17_54:                              ;   in Loop: Header=BB17_56 Depth=2
	s_or_b32 exec_lo, exec_lo, s24
.LBB17_55:                              ;   in Loop: Header=BB17_56 Depth=2
	s_delay_alu instid0(SALU_CYCLE_1)
	s_or_b32 exec_lo, exec_lo, s23
	v_add_nc_u32_e32 v7, 32, v7
	v_add_nc_u32_e32 v4, 0x80, v4
	s_waitcnt lgkmcnt(0)
	ds_store_b32 v8, v9
	v_cmp_le_i32_e64 s3, s36, v7
	s_delay_alu instid0(VALU_DEP_1) | instskip(NEXT) | instid1(SALU_CYCLE_1)
	s_or_b32 s22, s3, s22
	s_and_not1_b32 exec_lo, exec_lo, s22
	s_cbranch_execz .LBB17_51
.LBB17_56:                              ;   Parent Loop BB17_52 Depth=1
                                        ; =>  This Loop Header: Depth=2
                                        ;       Child Loop BB17_59 Depth 3
	s_delay_alu instid0(VALU_DEP_1)
	v_lshl_add_u32 v8, v7, 2, 0
	ds_load_b32 v9, v8
	s_and_saveexec_b32 s23, vcc_lo
	s_cbranch_execz .LBB17_55
; %bb.57:                               ;   in Loop: Header=BB17_56 Depth=2
	v_dual_mov_b32 v10, v4 :: v_dual_mov_b32 v11, v1
	v_mov_b32_e32 v12, v5
	s_mov_b32 s24, 0
	s_branch .LBB17_59
.LBB17_58:                              ;   in Loop: Header=BB17_59 Depth=3
	s_or_b32 exec_lo, exec_lo, s4
	ds_bpermute_b32 v13, v2, v13
	v_add_nc_u32_e32 v12, 8, v12
	v_add_nc_u32_e32 v11, s13, v11
	;; [unrolled: 1-line block ×3, first 2 shown]
	s_delay_alu instid0(VALU_DEP_3) | instskip(NEXT) | instid1(VALU_DEP_1)
	v_cmp_le_i32_e64 s3, s17, v12
	s_or_b32 s24, s3, s24
	s_waitcnt lgkmcnt(0)
	v_add_nc_u32_e32 v9, v13, v9
	s_and_not1_b32 exec_lo, exec_lo, s24
	s_cbranch_execz .LBB17_54
.LBB17_59:                              ;   Parent Loop BB17_52 Depth=1
                                        ;     Parent Loop BB17_56 Depth=2
                                        ; =>    This Inner Loop Header: Depth=3
	ds_load_b32 v14, v10
	s_waitcnt lgkmcnt(0)
	v_cmp_ne_u32_e64 s3, 0, v14
	s_delay_alu instid0(VALU_DEP_1) | instskip(NEXT) | instid1(VALU_DEP_1)
	v_cndmask_b32_e64 v13, 0, 1, s3
	v_mov_b32_dpp v13, v13 row_shr:1 row_mask:0xf bank_mask:0xf bound_ctrl:1
	s_delay_alu instid0(VALU_DEP_1) | instskip(NEXT) | instid1(VALU_DEP_1)
	v_add_co_ci_u32_e64 v15, s4, 0, v13, s3
	v_mov_b32_dpp v15, v15 row_shr:2 row_mask:0xf bank_mask:0xf bound_ctrl:1
	s_delay_alu instid0(VALU_DEP_1) | instskip(NEXT) | instid1(VALU_DEP_1)
	v_add_co_ci_u32_e64 v13, s4, v15, v13, s3
	v_add_nc_u32_dpp v13, v13, v13 row_shr:4 row_mask:0xf bank_mask:0xf bound_ctrl:1
	s_delay_alu instid0(VALU_DEP_1) | instskip(NEXT) | instid1(VALU_DEP_1)
	v_add_nc_u32_dpp v13, v13, v13 row_shr:8 row_mask:0xf bank_mask:0xf bound_ctrl:1
	v_mov_b32_dpp v15, v13 row_share:7 row_mask:0xf bank_mask:0xf bound_ctrl:1
	s_delay_alu instid0(VALU_DEP_1) | instskip(NEXT) | instid1(VALU_DEP_1)
	v_cndmask_b32_e64 v15, v15, 0, s2
	v_sub_nc_u32_e32 v13, v13, v15
	s_and_saveexec_b32 s4, s3
	s_cbranch_execz .LBB17_58
; %bb.60:                               ;   in Loop: Header=BB17_59 Depth=3
	v_add_nc_u32_e32 v15, v11, v14
	v_add_nc_u32_e32 v17, s12, v12
	s_delay_alu instid0(VALU_DEP_2) | instskip(NEXT) | instid1(VALU_DEP_2)
	v_ashrrev_i32_e32 v16, 31, v15
	v_perm_b32 v17, v14, v17, 0x4020100
	s_delay_alu instid0(VALU_DEP_2) | instskip(NEXT) | instid1(VALU_DEP_2)
	v_lshlrev_b64 v[15:16], 2, v[15:16]
	v_add_nc_u32_e32 v19, 0xff000000, v17
	s_delay_alu instid0(VALU_DEP_2) | instskip(NEXT) | instid1(VALU_DEP_1)
	v_add_co_u32 v15, s3, s8, v15
	v_add_co_ci_u32_e64 v16, s3, s9, v16, s3
	global_load_b32 v18, v[15:16], off
	v_add_nc_u32_e32 v15, v13, v9
	s_delay_alu instid0(VALU_DEP_1) | instskip(NEXT) | instid1(VALU_DEP_1)
	v_ashrrev_i32_e32 v16, 31, v15
	v_lshlrev_b64 v[14:15], 2, v[15:16]
	s_delay_alu instid0(VALU_DEP_1) | instskip(NEXT) | instid1(VALU_DEP_1)
	v_add_co_u32 v16, s3, s6, v14
	v_add_co_ci_u32_e64 v17, s3, s7, v15, s3
	v_add_co_u32 v14, s3, s10, v14
	s_delay_alu instid0(VALU_DEP_1)
	v_add_co_ci_u32_e64 v15, s3, s11, v15, s3
	global_store_b32 v[16:17], v19, off
	s_waitcnt vmcnt(0)
	global_store_b32 v[14:15], v18, off
	s_branch .LBB17_58
.LBB17_61:
	s_and_saveexec_b32 s0, s1
	s_cbranch_execz .LBB17_67
; %bb.62:
	v_mov_b32_e32 v6, 0
	s_and_b32 s0, s16, 0xffffff
	s_lshl_b32 s1, s28, 24
	s_add_i32 s5, s5, 4
	s_or_b32 s1, s0, s1
	s_mov_b32 s2, 0
	s_set_inst_prefetch_distance 0x1
	s_branch .LBB17_64
	.p2align	6
.LBB17_63:                              ;   in Loop: Header=BB17_64 Depth=1
	s_or_b32 exec_lo, exec_lo, s3
	v_add_nc_u32_e32 v0, 0x100, v0
	s_delay_alu instid0(VALU_DEP_1) | instskip(SKIP_1) | instid1(SALU_CYCLE_1)
	v_cmp_le_i32_e32 vcc_lo, s36, v0
	s_or_b32 s2, vcc_lo, s2
	s_and_not1_b32 exec_lo, exec_lo, s2
	s_cbranch_execz .LBB17_67
.LBB17_64:                              ; =>This Loop Header: Depth=1
                                        ;     Child Loop BB17_66 Depth 2
	v_lshlrev_b32_e32 v1, 2, v0
	s_mov_b32 s3, exec_lo
	s_delay_alu instid0(VALU_DEP_1)
	v_add_nc_u32_e32 v2, 0, v1
	v_add_nc_u32_e32 v3, s5, v1
	ds_load_b32 v1, v2
	ds_load_b32 v7, v3
	s_waitcnt lgkmcnt(0)
	v_cmpx_lt_i32_e64 v1, v7
	s_cbranch_execz .LBB17_63
; %bb.65:                               ;   in Loop: Header=BB17_64 Depth=1
	v_ashrrev_i32_e32 v2, 31, v1
	s_mov_b32 s4, 0
	s_delay_alu instid0(VALU_DEP_1) | instskip(NEXT) | instid1(VALU_DEP_1)
	v_lshlrev_b64 v[4:5], 2, v[1:2]
	v_add_co_u32 v2, vcc_lo, s18, v4
	s_delay_alu instid0(VALU_DEP_2)
	v_add_co_ci_u32_e32 v3, vcc_lo, s19, v5, vcc_lo
	v_add_co_u32 v4, vcc_lo, s20, v4
	v_add_co_ci_u32_e32 v5, vcc_lo, s21, v5, vcc_lo
	.p2align	6
.LBB17_66:                              ;   Parent Loop BB17_64 Depth=1
                                        ; =>  This Inner Loop Header: Depth=2
	v_dual_mov_b32 v8, s1 :: v_dual_add_nc_u32 v1, 1, v1
	global_store_b32 v[4:5], v6, off
	v_add_co_u32 v4, vcc_lo, v4, 4
	v_add_co_ci_u32_e32 v5, vcc_lo, 0, v5, vcc_lo
	global_store_b32 v[2:3], v8, off
	v_cmp_ge_i32_e32 vcc_lo, v1, v7
	v_add_co_u32 v2, s0, v2, 4
	s_delay_alu instid0(VALU_DEP_1) | instskip(SKIP_1) | instid1(SALU_CYCLE_1)
	v_add_co_ci_u32_e64 v3, s0, 0, v3, s0
	s_or_b32 s4, vcc_lo, s4
	s_and_not1_b32 exec_lo, exec_lo, s4
	s_cbranch_execnz .LBB17_66
	s_branch .LBB17_63
.LBB17_67:
	s_set_inst_prefetch_distance 0x2
	s_nop 0
	s_sendmsg sendmsg(MSG_DEALLOC_VGPRS)
	s_endpgm
	.section	.rodata,"a",@progbits
	.p2align	6, 0x0
	.amdhsa_kernel _ZN5aiter22opus_moe_sorting_entryINS_16MoeSortingKernelINS_19MoeSortingProblemExIifLi8ELb1ELb0ELb1ELb1ELi0EEEEENS4_5KargsEEEvT0_
		.amdhsa_group_segment_fixed_size 0
		.amdhsa_private_segment_fixed_size 0
		.amdhsa_kernarg_size 400
		.amdhsa_user_sgpr_count 15
		.amdhsa_user_sgpr_dispatch_ptr 0
		.amdhsa_user_sgpr_queue_ptr 0
		.amdhsa_user_sgpr_kernarg_segment_ptr 1
		.amdhsa_user_sgpr_dispatch_id 0
		.amdhsa_user_sgpr_private_segment_size 0
		.amdhsa_wavefront_size32 1
		.amdhsa_uses_dynamic_stack 0
		.amdhsa_enable_private_segment 0
		.amdhsa_system_sgpr_workgroup_id_x 1
		.amdhsa_system_sgpr_workgroup_id_y 0
		.amdhsa_system_sgpr_workgroup_id_z 0
		.amdhsa_system_sgpr_workgroup_info 0
		.amdhsa_system_vgpr_workitem_id 0
		.amdhsa_next_free_vgpr 29
		.amdhsa_next_free_sgpr 44
		.amdhsa_reserve_vcc 1
		.amdhsa_float_round_mode_32 0
		.amdhsa_float_round_mode_16_64 0
		.amdhsa_float_denorm_mode_32 3
		.amdhsa_float_denorm_mode_16_64 3
		.amdhsa_dx10_clamp 1
		.amdhsa_ieee_mode 1
		.amdhsa_fp16_overflow 0
		.amdhsa_workgroup_processor_mode 1
		.amdhsa_memory_ordered 1
		.amdhsa_forward_progress 0
		.amdhsa_shared_vgpr_count 0
		.amdhsa_exception_fp_ieee_invalid_op 0
		.amdhsa_exception_fp_denorm_src 0
		.amdhsa_exception_fp_ieee_div_zero 0
		.amdhsa_exception_fp_ieee_overflow 0
		.amdhsa_exception_fp_ieee_underflow 0
		.amdhsa_exception_fp_ieee_inexact 0
		.amdhsa_exception_int_div_zero 0
	.end_amdhsa_kernel
	.section	.text._ZN5aiter22opus_moe_sorting_entryINS_16MoeSortingKernelINS_19MoeSortingProblemExIifLi8ELb1ELb0ELb1ELb1ELi0EEEEENS4_5KargsEEEvT0_,"axG",@progbits,_ZN5aiter22opus_moe_sorting_entryINS_16MoeSortingKernelINS_19MoeSortingProblemExIifLi8ELb1ELb0ELb1ELb1ELi0EEEEENS4_5KargsEEEvT0_,comdat
.Lfunc_end17:
	.size	_ZN5aiter22opus_moe_sorting_entryINS_16MoeSortingKernelINS_19MoeSortingProblemExIifLi8ELb1ELb0ELb1ELb1ELi0EEEEENS4_5KargsEEEvT0_, .Lfunc_end17-_ZN5aiter22opus_moe_sorting_entryINS_16MoeSortingKernelINS_19MoeSortingProblemExIifLi8ELb1ELb0ELb1ELb1ELi0EEEEENS4_5KargsEEEvT0_
                                        ; -- End function
	.section	.AMDGPU.csdata,"",@progbits
; Kernel info:
; codeLenInByte = 3612
; NumSgprs: 46
; NumVgprs: 29
; ScratchSize: 0
; MemoryBound: 0
; FloatMode: 240
; IeeeMode: 1
; LDSByteSize: 0 bytes/workgroup (compile time only)
; SGPRBlocks: 5
; VGPRBlocks: 3
; NumSGPRsForWavesPerEU: 46
; NumVGPRsForWavesPerEU: 29
; Occupancy: 16
; WaveLimiterHint : 1
; COMPUTE_PGM_RSRC2:SCRATCH_EN: 0
; COMPUTE_PGM_RSRC2:USER_SGPR: 15
; COMPUTE_PGM_RSRC2:TRAP_HANDLER: 0
; COMPUTE_PGM_RSRC2:TGID_X_EN: 1
; COMPUTE_PGM_RSRC2:TGID_Y_EN: 0
; COMPUTE_PGM_RSRC2:TGID_Z_EN: 0
; COMPUTE_PGM_RSRC2:TIDIG_COMP_CNT: 0
	.section	.text._ZN5aiter22opus_moe_sorting_entryINS_16MoeSortingKernelINS_19MoeSortingProblemExIifLi4ELb1ELb0ELb1ELb1ELi0EEEEENS4_5KargsEEEvT0_,"axG",@progbits,_ZN5aiter22opus_moe_sorting_entryINS_16MoeSortingKernelINS_19MoeSortingProblemExIifLi4ELb1ELb0ELb1ELb1ELi0EEEEENS4_5KargsEEEvT0_,comdat
	.protected	_ZN5aiter22opus_moe_sorting_entryINS_16MoeSortingKernelINS_19MoeSortingProblemExIifLi4ELb1ELb0ELb1ELb1ELi0EEEEENS4_5KargsEEEvT0_ ; -- Begin function _ZN5aiter22opus_moe_sorting_entryINS_16MoeSortingKernelINS_19MoeSortingProblemExIifLi4ELb1ELb0ELb1ELb1ELi0EEEEENS4_5KargsEEEvT0_
	.globl	_ZN5aiter22opus_moe_sorting_entryINS_16MoeSortingKernelINS_19MoeSortingProblemExIifLi4ELb1ELb0ELb1ELb1ELi0EEEEENS4_5KargsEEEvT0_
	.p2align	8
	.type	_ZN5aiter22opus_moe_sorting_entryINS_16MoeSortingKernelINS_19MoeSortingProblemExIifLi4ELb1ELb0ELb1ELb1ELi0EEEEENS4_5KargsEEEvT0_,@function
_ZN5aiter22opus_moe_sorting_entryINS_16MoeSortingKernelINS_19MoeSortingProblemExIifLi4ELb1ELb0ELb1ELb1ELi0EEEEENS4_5KargsEEEvT0_: ; @_ZN5aiter22opus_moe_sorting_entryINS_16MoeSortingKernelINS_19MoeSortingProblemExIifLi4ELb1ELb0ELb1ELb1ELi0EEEEENS4_5KargsEEEvT0_
; %bb.0:
	s_clause 0x3
	s_load_b256 s[4:11], s[0:1], 0x18
	s_load_b128 s[24:27], s[0:1], 0x38
	s_load_b64 s[34:35], s[0:1], 0x48
	s_load_b128 s[20:23], s[0:1], 0x54
	s_cmp_eq_u32 s15, 0
	s_waitcnt lgkmcnt(0)
	s_load_b32 s33, s[4:5], 0x0
	s_cbranch_scc1 .LBB18_7
; %bb.1:
	s_cmp_eq_u64 s[26:27], 0
	s_cbranch_scc1 .LBB18_6
; %bb.2:
	s_waitcnt lgkmcnt(0)
	s_ashr_i32 s2, s33, 31
	s_mul_i32 s3, s22, s21
	s_mul_hi_i32 s5, s22, s21
	s_mul_i32 s2, s3, s2
	s_mul_hi_u32 s4, s3, s33
	s_mul_i32 s5, s5, s33
	s_add_i32 s2, s4, s2
	s_mul_i32 s3, s3, s33
	s_add_i32 s4, s2, s5
	v_mov_b32_e32 v2, 0
	s_ashr_i32 s2, s4, 31
	s_mov_b32 s13, 0
	s_lshr_b32 s2, s2, 28
	s_delay_alu instid0(SALU_CYCLE_1) | instskip(SKIP_2) | instid1(SALU_CYCLE_1)
	s_add_u32 s2, s3, s2
	s_addc_u32 s3, s4, 0
	s_lshl_b32 s4, s15, 8
	v_add3_u32 v1, v0, s4, 0xffffff00
	s_ashr_i64 s[4:5], s[2:3], 4
	s_mov_b32 s3, exec_lo
	s_delay_alu instid0(VALU_DEP_1)
	v_cmpx_gt_i64_e64 s[4:5], v[1:2]
	s_cbranch_execz .LBB18_5
; %bb.3:
	s_load_b32 s2, s[0:1], 0x90
	v_lshlrev_b64 v[3:4], 4, v[1:2]
	v_dual_mov_b32 v6, v2 :: v_dual_mov_b32 v5, v1
	v_mov_b32_e32 v1, v2
	s_delay_alu instid0(VALU_DEP_3) | instskip(NEXT) | instid1(VALU_DEP_4)
	v_add_co_u32 v7, vcc_lo, s26, v3
	v_add_co_ci_u32_e32 v8, vcc_lo, s27, v4, vcc_lo
	v_mov_b32_e32 v3, v2
	v_mov_b32_e32 v4, v2
	s_waitcnt lgkmcnt(0)
	s_lshl_b32 s2, s2, 8
	s_delay_alu instid0(SALU_CYCLE_1) | instskip(NEXT) | instid1(SALU_CYCLE_1)
	s_add_i32 s12, s2, 0xffffff00
	s_lshl_b64 s[14:15], s[12:13], 4
.LBB18_4:                               ; =>This Inner Loop Header: Depth=1
	v_add_co_u32 v5, vcc_lo, v5, s12
	v_add_co_ci_u32_e32 v6, vcc_lo, 0, v6, vcc_lo
	global_store_b128 v[7:8], v[1:4], off
	v_add_co_u32 v7, s2, v7, s14
	v_cmp_le_i64_e32 vcc_lo, s[4:5], v[5:6]
	v_add_co_ci_u32_e64 v8, s2, s15, v8, s2
	s_or_b32 s13, vcc_lo, s13
	s_delay_alu instid0(SALU_CYCLE_1)
	s_and_not1_b32 exec_lo, exec_lo, s13
	s_cbranch_execnz .LBB18_4
.LBB18_5:
	s_or_b32 exec_lo, exec_lo, s3
.LBB18_6:
	s_cbranch_execz .LBB18_8
	s_branch .LBB18_67
.LBB18_7:
.LBB18_8:
	s_clause 0x1
	s_load_b256 s[12:19], s[0:1], 0x64
	s_load_b64 s[2:3], s[0:1], 0x84
	v_lshrrev_b32_e32 v1, 5, v0
	s_add_i32 s27, s20, 1
	s_mov_b32 s29, exec_lo
	s_delay_alu instid0(VALU_DEP_1) | instskip(SKIP_2) | instid1(SALU_CYCLE_1)
	v_readfirstlane_b32 s26, v1
	s_waitcnt lgkmcnt(0)
	s_add_i32 s21, s12, -2
	s_mul_i32 s28, s21, s20
	s_delay_alu instid0(SALU_CYCLE_1)
	v_cmpx_gt_i32_e64 s28, v0
	s_cbranch_execz .LBB18_11
; %bb.9:
	v_dual_mov_b32 v4, 0 :: v_dual_lshlrev_b32 v3, 2, v0
	s_lshl_b32 s4, s20, 3
	v_mad_u64_u32 v[1:2], null, v0, s2, 0
	s_add_i32 s4, s4, 0
	v_mov_b32_e32 v5, v0
	v_add3_u32 v3, s4, v3, 8
	s_mov_b32 s5, 0
	s_sub_i32 s19, s27, s19
	s_mov_b32 s4, s2
	s_lshl_b32 s19, s19, 2
	s_lshl_b64 s[22:23], s[4:5], 8
	.p2align	6
.LBB18_10:                              ; =>This Inner Loop Header: Depth=1
	v_add_nc_u32_e32 v6, v5, v2
	v_add_nc_u32_e32 v5, 0x100, v5
	v_add_co_u32 v1, vcc_lo, v1, s22
	v_add_co_ci_u32_e32 v2, vcc_lo, s23, v2, vcc_lo
	s_delay_alu instid0(VALU_DEP_4) | instskip(NEXT) | instid1(VALU_DEP_4)
	v_lshrrev_b32_e32 v8, s3, v6
	v_cmp_le_i32_e64 s2, s28, v5
	s_delay_alu instid0(VALU_DEP_2) | instskip(SKIP_1) | instid1(VALU_DEP_3)
	v_mad_u64_u32 v[6:7], null, s19, v8, v[3:4]
	v_add_nc_u32_e32 v3, 0x400, v3
	s_or_b32 s5, s2, s5
	ds_store_b32 v6, v4
	s_and_not1_b32 exec_lo, exec_lo, s5
	s_cbranch_execnz .LBB18_10
.LBB18_11:
	s_or_b32 exec_lo, exec_lo, s29
	s_load_b128 s[28:31], s[0:1], 0x0
	s_cmp_gt_i32 s33, 0
	s_mov_b32 s3, 0
	s_cselect_b32 s22, -1, 0
	s_cmp_lt_i32 s33, 1
	s_mul_i32 s19, s16, s21
	s_waitcnt lgkmcnt(0)
	s_waitcnt_vscnt null, 0x0
	s_barrier
	buffer_gl0_inv
	s_cbranch_scc1 .LBB18_19
; %bb.12:
	v_mad_u64_u32 v[1:2], null, v0, s17, 0
	v_cmp_gt_i32_e32 vcc_lo, s19, v0
	v_mov_b32_e32 v4, 0
	s_lshl_b32 s0, s27, 3
	s_mov_b32 s2, s17
	s_add_i32 s23, s0, 0
	s_sub_i32 s17, 0, s16
	s_lshl_b64 s[4:5], s[2:3], 8
	s_mov_b32 s2, 0
	s_branch .LBB18_14
.LBB18_13:                              ;   in Loop: Header=BB18_14 Depth=1
	s_set_inst_prefetch_distance 0x2
	s_or_b32 exec_lo, exec_lo, s36
	s_add_i32 s2, s2, s21
	s_add_i32 s3, s3, s19
	s_cmp_ge_i32 s2, s33
	s_waitcnt lgkmcnt(0)
	s_barrier
	buffer_gl0_inv
	s_cbranch_scc1 .LBB18_19
.LBB18_14:                              ; =>This Loop Header: Depth=1
                                        ;     Child Loop BB18_17 Depth 2
	s_and_saveexec_b32 s36, vcc_lo
	s_cbranch_execz .LBB18_13
; %bb.15:                               ;   in Loop: Header=BB18_14 Depth=1
	v_dual_mov_b32 v6, v2 :: v_dual_mov_b32 v5, v1
	v_mov_b32_e32 v7, v0
	s_mov_b32 s37, 0
	s_set_inst_prefetch_distance 0x1
	s_branch .LBB18_17
	.p2align	6
.LBB18_16:                              ;   in Loop: Header=BB18_17 Depth=2
	s_or_b32 exec_lo, exec_lo, s1
	v_add_nc_u32_e32 v7, 0x100, v7
	v_add_co_u32 v5, s1, v5, s4
	s_delay_alu instid0(VALU_DEP_1) | instskip(NEXT) | instid1(VALU_DEP_3)
	v_add_co_ci_u32_e64 v6, s1, s5, v6, s1
	v_cmp_le_i32_e64 s0, s19, v7
	s_waitcnt vmcnt(48) lgkmcnt(7)
	s_delay_alu instid0(VALU_DEP_1) | instskip(NEXT) | instid1(SALU_CYCLE_1)
	s_or_b32 s37, s0, s37
	s_and_not1_b32 exec_lo, exec_lo, s37
	s_cbranch_execz .LBB18_13
.LBB18_17:                              ;   Parent Loop BB18_14 Depth=1
                                        ; =>  This Inner Loop Header: Depth=2
	s_delay_alu instid0(VALU_DEP_1) | instskip(SKIP_1) | instid1(VALU_DEP_1)
	v_add_nc_u32_e32 v3, v7, v6
	s_mov_b32 s1, exec_lo
	v_lshrrev_b32_e32 v8, s18, v3
	s_delay_alu instid0(VALU_DEP_1) | instskip(NEXT) | instid1(VALU_DEP_1)
	v_add_nc_u32_e32 v3, s2, v8
	v_cmpx_gt_i32_e64 s33, v3
	s_cbranch_execz .LBB18_16
; %bb.18:                               ;   in Loop: Header=BB18_17 Depth=2
	v_add_nc_u32_e32 v3, s3, v7
	s_delay_alu instid0(VALU_DEP_1) | instskip(NEXT) | instid1(VALU_DEP_1)
	v_lshlrev_b64 v[9:10], 2, v[3:4]
	v_add_co_u32 v9, s0, s28, v9
	s_delay_alu instid0(VALU_DEP_1) | instskip(SKIP_3) | instid1(VALU_DEP_2)
	v_add_co_ci_u32_e64 v10, s0, s29, v10, s0
	global_load_b32 v3, v[9:10], off
	v_mul_lo_u32 v9, v8, s27
	v_mul_lo_u32 v8, s17, v8
	v_lshlrev_b32_e32 v9, 2, v9
	s_delay_alu instid0(VALU_DEP_2) | instskip(SKIP_2) | instid1(VALU_DEP_1)
	v_add3_u32 v8, v7, v8, 1
	s_waitcnt vmcnt(0)
	v_lshlrev_b32_e32 v3, 2, v3
	v_add3_u32 v3, s23, v3, v9
	ds_store_b32 v3, v8
	s_branch .LBB18_16
.LBB18_19:
	s_mov_b32 s0, exec_lo
	v_cmpx_eq_u32_e32 0, v0
	s_cbranch_execz .LBB18_21
; %bb.20:
	v_mov_b32_e32 v1, 0
	ds_store_b32 v1, v1
.LBB18_21:
	s_or_b32 exec_lo, exec_lo, s0
	v_and_b32_e32 v5, 7, v0
	v_lshrrev_b32_e32 v6, 3, v0
	v_mbcnt_lo_u32_b32 v9, -1, 0
	s_mov_b32 s18, 0
	s_delay_alu instid0(VALU_DEP_3) | instskip(NEXT) | instid1(VALU_DEP_3)
	v_mul_lo_u32 v1, s27, v5
	v_cmp_gt_i32_e64 s0, s20, v6
	v_lshlrev_b32_e32 v7, 2, v6
	s_delay_alu instid0(VALU_DEP_3) | instskip(NEXT) | instid1(VALU_DEP_3)
	v_lshlrev_b32_e32 v8, 2, v1
	s_and_saveexec_b32 s17, s0
	s_cbranch_execz .LBB18_29
; %bb.22:
	s_cmp_gt_i32 s12, 2
	s_mul_i32 s2, s20, 0x68
	s_mul_i32 s3, s20, 0x48
	s_cselect_b32 s12, -1, 0
	s_add_i32 s2, s2, 0
	s_add_i32 s3, s3, 0
	v_lshlrev_b32_e32 v3, 2, v9
	v_add3_u32 v4, s2, v8, 0x68
	v_add3_u32 v10, s3, v8, 0x48
	s_mul_i32 s2, s20, 40
	s_lshl_b32 s3, s20, 3
	s_add_i32 s2, s2, 0
	s_add_i32 s3, s3, 0
	v_cmp_eq_u32_e64 s1, 0, v5
	v_xor_b32_e32 v1, 4, v3
	v_xor_b32_e32 v2, 8, v3
	;; [unrolled: 1-line block ×3, first 2 shown]
	v_add3_u32 v11, s2, v8, 40
	v_add3_u32 v12, s3, v8, 8
	v_mov_b32_e32 v13, v6
	s_lshl_b32 s23, s20, 7
	s_delay_alu instid0(SALU_CYCLE_1)
	s_addk_i32 s23, 0x80
	s_branch .LBB18_24
.LBB18_23:                              ;   in Loop: Header=BB18_24 Depth=1
	s_or_b32 exec_lo, exec_lo, s2
	v_add_nc_u32_e32 v13, 32, v13
	v_add_nc_u32_e32 v4, 0x80, v4
	;; [unrolled: 1-line block ×5, first 2 shown]
	v_cmp_le_i32_e32 vcc_lo, s20, v13
	s_or_b32 s18, vcc_lo, s18
	s_delay_alu instid0(SALU_CYCLE_1)
	s_and_not1_b32 exec_lo, exec_lo, s18
	s_cbranch_execz .LBB18_29
.LBB18_24:                              ; =>This Loop Header: Depth=1
                                        ;     Child Loop BB18_26 Depth 2
	v_mov_b32_e32 v14, 0
	s_and_not1_b32 vcc_lo, exec_lo, s12
	s_cbranch_vccnz .LBB18_27
; %bb.25:                               ;   in Loop: Header=BB18_24 Depth=1
	v_dual_mov_b32 v14, 0 :: v_dual_mov_b32 v15, v12
	v_dual_mov_b32 v16, v11 :: v_dual_mov_b32 v17, v10
	v_mov_b32_e32 v18, v4
	s_mov_b32 s27, 0
.LBB18_26:                              ;   Parent Loop BB18_24 Depth=1
                                        ; =>  This Inner Loop Header: Depth=2
	s_delay_alu instid0(VALU_DEP_3) | instskip(NEXT) | instid1(VALU_DEP_3)
	v_add_nc_u32_e32 v19, v15, v7
	v_add_nc_u32_e32 v20, v16, v7
	;; [unrolled: 1-line block ×5, first 2 shown]
	ds_load_b32 v19, v19
	ds_load_b32 v20, v20
	;; [unrolled: 1-line block ×4, first 2 shown]
	v_add_nc_u32_e32 v17, s23, v17
	v_add_nc_u32_e32 v16, s23, v16
	;; [unrolled: 1-line block ×3, first 2 shown]
	s_add_i32 s27, s27, 32
	s_delay_alu instid0(SALU_CYCLE_1)
	s_cmp_lt_i32 s27, s21
	s_waitcnt lgkmcnt(3)
	v_cmp_ne_u32_e32 vcc_lo, 0, v19
	s_waitcnt lgkmcnt(2)
	v_cmp_ne_u32_e64 s2, 0, v20
	s_waitcnt lgkmcnt(1)
	v_cmp_ne_u32_e64 s3, 0, v21
	;; [unrolled: 2-line block ×3, first 2 shown]
	v_cndmask_b32_e64 v19, 0, 1, vcc_lo
	v_cndmask_b32_e64 v20, 0, 1, s2
	v_cndmask_b32_e64 v21, 0, 1, s3
	s_delay_alu instid0(VALU_DEP_4)
	v_cndmask_b32_e64 v22, 0, 1, s4
	ds_bpermute_b32 v19, v1, v19
	ds_bpermute_b32 v20, v1, v20
	;; [unrolled: 1-line block ×4, first 2 shown]
	s_waitcnt lgkmcnt(3)
	v_add_co_ci_u32_e64 v23, s5, 0, v19, vcc_lo
	s_waitcnt lgkmcnt(2)
	v_add_co_ci_u32_e64 v24, s5, 0, v20, s2
	s_waitcnt lgkmcnt(1)
	v_add_co_ci_u32_e64 v25, s5, 0, v21, s3
	ds_bpermute_b32 v23, v2, v23
	ds_bpermute_b32 v24, v2, v24
	s_waitcnt lgkmcnt(2)
	v_add_co_ci_u32_e64 v26, s5, 0, v22, s4
	ds_bpermute_b32 v25, v2, v25
	ds_bpermute_b32 v26, v2, v26
	s_waitcnt lgkmcnt(3)
	v_add_co_ci_u32_e32 v19, vcc_lo, v23, v19, vcc_lo
	s_waitcnt lgkmcnt(2)
	v_add_co_ci_u32_e64 v20, vcc_lo, v24, v20, s2
	s_waitcnt lgkmcnt(1)
	v_add_co_ci_u32_e64 v21, vcc_lo, v25, v21, s3
	ds_bpermute_b32 v23, v3, v19
	ds_bpermute_b32 v24, v3, v20
	s_waitcnt lgkmcnt(2)
	v_add_co_ci_u32_e64 v22, vcc_lo, v26, v22, s4
	ds_bpermute_b32 v25, v3, v21
	ds_bpermute_b32 v26, v3, v22
	s_waitcnt lgkmcnt(3)
	v_add3_u32 v14, v19, v14, v23
	s_waitcnt lgkmcnt(2)
	s_delay_alu instid0(VALU_DEP_1) | instskip(SKIP_1) | instid1(VALU_DEP_1)
	v_add3_u32 v14, v14, v20, v24
	s_waitcnt lgkmcnt(1)
	v_add3_u32 v14, v14, v21, v25
	s_waitcnt lgkmcnt(0)
	s_delay_alu instid0(VALU_DEP_1)
	v_add3_u32 v14, v14, v22, v26
	s_cbranch_scc1 .LBB18_26
.LBB18_27:                              ;   in Loop: Header=BB18_24 Depth=1
	s_and_saveexec_b32 s2, s1
	s_cbranch_execz .LBB18_23
; %bb.28:                               ;   in Loop: Header=BB18_24 Depth=1
	v_lshl_add_u32 v15, v13, 2, 0
	ds_store_b32 v15, v14 offset:4
	s_branch .LBB18_23
.LBB18_29:
	s_or_b32 exec_lo, exec_lo, s17
	s_cmp_lg_u32 s26, 0
	s_mov_b32 s3, 0
	s_waitcnt lgkmcnt(0)
	s_barrier
	buffer_gl0_inv
	s_cbranch_scc1 .LBB18_38
; %bb.30:
	v_mov_b32_e32 v1, 0
	s_cmp_lt_i32 s20, 1
	s_cbranch_scc1 .LBB18_35
; %bb.31:
	v_lshlrev_b32_e32 v1, 2, v9
	v_cmp_eq_u32_e32 vcc_lo, 0, v9
	v_cmp_lt_u32_e64 s1, 15, v9
	s_add_i32 s4, s13, -1
	s_delay_alu instid0(VALU_DEP_3) | instskip(SKIP_1) | instid1(VALU_DEP_2)
	v_and_b32_e32 v2, 64, v1
	v_add3_u32 v3, v1, 0, 4
	v_add_nc_u32_e32 v2, -4, v2
	s_set_inst_prefetch_distance 0x1
	s_branch .LBB18_33
	.p2align	6
.LBB18_32:                              ;   in Loop: Header=BB18_33 Depth=1
	s_or_b32 exec_lo, exec_lo, s5
	v_add_nc_u32_e32 v3, 0x80, v3
	s_add_i32 s3, s3, 32
	s_waitcnt vmcnt(48) lgkmcnt(7)
	s_cmp_lt_i32 s3, s20
	s_cbranch_scc0 .LBB18_35
.LBB18_33:                              ; =>This Inner Loop Header: Depth=1
	ds_load_b32 v1, v3
	v_cndmask_b32_e64 v4, 0, s3, vcc_lo
	s_mov_b32 s5, exec_lo
	s_delay_alu instid0(VALU_DEP_1) | instskip(SKIP_4) | instid1(VALU_DEP_1)
	v_lshl_add_u32 v4, v4, 2, 0
	s_waitcnt lgkmcnt(0)
	v_add_nc_u32_e32 v10, s4, v1
	ds_load_b32 v1, v4
	v_mul_hi_u32 v4, v10, s14
	v_add_nc_u32_e32 v4, v10, v4
	s_delay_alu instid0(VALU_DEP_1) | instskip(SKIP_1) | instid1(VALU_DEP_1)
	v_lshrrev_b32_e32 v4, s15, v4
	s_waitcnt lgkmcnt(0)
	v_mad_u64_u32 v[10:11], null, v4, s13, v[1:2]
	s_delay_alu instid0(VALU_DEP_1) | instskip(SKIP_1) | instid1(VALU_DEP_2)
	v_add_nc_u32_dpp v1, v10, v10 row_shr:1 row_mask:0xf bank_mask:0xf bound_ctrl:1
	v_add_nc_u32_e32 v10, s3, v9
	v_add_nc_u32_dpp v1, v1, v1 row_shr:2 row_mask:0xf bank_mask:0xf bound_ctrl:1
	s_delay_alu instid0(VALU_DEP_1) | instskip(NEXT) | instid1(VALU_DEP_1)
	v_add_nc_u32_dpp v1, v1, v1 row_shr:4 row_mask:0xf bank_mask:0xf bound_ctrl:1
	v_add_nc_u32_dpp v1, v1, v1 row_shr:8 row_mask:0xf bank_mask:0xf bound_ctrl:1
	ds_bpermute_b32 v4, v2, v1
	s_waitcnt lgkmcnt(0)
	v_cndmask_b32_e64 v4, 0, v4, s1
	s_delay_alu instid0(VALU_DEP_1)
	v_add_nc_u32_e32 v1, v1, v4
	v_cmpx_gt_i32_e64 s20, v10
	s_cbranch_execz .LBB18_32
; %bb.34:                               ;   in Loop: Header=BB18_33 Depth=1
	ds_store_b32 v3, v1
	s_branch .LBB18_32
.LBB18_35:
	s_set_inst_prefetch_distance 0x2
	v_add3_u32 v2, v9, s3, 0xffffffe1
	s_mov_b32 s1, exec_lo
	s_delay_alu instid0(VALU_DEP_1)
	v_cmpx_eq_u32_e64 s20, v2
	s_cbranch_execz .LBB18_37
; %bb.36:
	v_dual_mov_b32 v3, 0 :: v_dual_mov_b32 v2, s33
	global_store_b64 v3, v[1:2], s[24:25]
.LBB18_37:
	s_or_b32 exec_lo, exec_lo, s1
.LBB18_38:
	s_cmp_eq_u64 s[34:35], 0
	s_waitcnt lgkmcnt(0)
	s_waitcnt_vscnt null, 0x0
	s_barrier
	buffer_gl0_inv
	s_cbranch_scc1 .LBB18_43
; %bb.39:
	s_mul_i32 s2, s33, s16
	s_mov_b32 s3, exec_lo
	v_cmpx_gt_i32_e64 s2, v0
	s_cbranch_execz .LBB18_42
; %bb.40:
	v_dual_mov_b32 v10, v0 :: v_dual_lshlrev_b32 v3, 2, v0
	s_mov_b32 s4, 0
	s_delay_alu instid0(VALU_DEP_1) | instskip(NEXT) | instid1(VALU_DEP_1)
	v_add_co_u32 v1, s1, s28, v3
	v_add_co_ci_u32_e64 v2, null, s29, 0, s1
	v_add_co_u32 v3, s1, s34, v3
	s_delay_alu instid0(VALU_DEP_1)
	v_add_co_ci_u32_e64 v4, null, s35, 0, s1
	.p2align	6
.LBB18_41:                              ; =>This Inner Loop Header: Depth=1
	global_load_b32 v11, v[1:2], off
	v_add_nc_u32_e32 v10, 0x100, v10
	v_add_co_u32 v1, vcc_lo, 0x400, v1
	v_add_co_ci_u32_e32 v2, vcc_lo, 0, v2, vcc_lo
	s_delay_alu instid0(VALU_DEP_3) | instskip(SKIP_4) | instid1(VALU_DEP_1)
	v_cmp_le_i32_e32 vcc_lo, s2, v10
	s_or_b32 s4, vcc_lo, s4
	s_waitcnt vmcnt(0)
	global_store_b32 v[3:4], v11, off
	v_add_co_u32 v3, s1, 0x400, v3
	v_add_co_ci_u32_e64 v4, s1, 0, v4, s1
	s_and_not1_b32 exec_lo, exec_lo, s4
	s_cbranch_execnz .LBB18_41
.LBB18_42:
	s_or_b32 exec_lo, exec_lo, s3
	s_waitcnt_vscnt null, 0x0
	s_barrier
	buffer_gl0_inv
.LBB18_43:
	s_lshl_b32 s3, s20, 2
	v_cmp_gt_i32_e64 s1, s20, v0
	s_add_i32 s4, s3, 0
	s_mov_b32 s12, 0
	s_add_i32 s5, s4, 4
	s_delay_alu instid0(VALU_DEP_1)
	s_and_saveexec_b32 s17, s1
	s_cbranch_execz .LBB18_49
; %bb.44:
	v_mov_b32_e32 v2, 0
	v_mov_b32_e32 v10, v0
	s_set_inst_prefetch_distance 0x1
	s_branch .LBB18_46
	.p2align	6
.LBB18_45:                              ;   in Loop: Header=BB18_46 Depth=1
	s_or_b32 exec_lo, exec_lo, s18
	v_add_nc_u32_e32 v10, 0x100, v10
	s_delay_alu instid0(VALU_DEP_1) | instskip(SKIP_1) | instid1(SALU_CYCLE_1)
	v_cmp_le_i32_e32 vcc_lo, s20, v10
	s_or_b32 s12, vcc_lo, s12
	s_and_not1_b32 exec_lo, exec_lo, s12
	s_cbranch_execz .LBB18_49
.LBB18_46:                              ; =>This Loop Header: Depth=1
                                        ;     Child Loop BB18_48 Depth 2
	s_delay_alu instid0(VALU_DEP_1) | instskip(SKIP_1) | instid1(VALU_DEP_1)
	v_lshlrev_b32_e32 v1, 2, v10
	s_mov_b32 s18, exec_lo
	v_add_nc_u32_e32 v3, 0, v1
	v_add_nc_u32_e32 v1, s5, v1
	ds_load_2addr_b32 v[3:4], v3 offset1:1
	s_waitcnt lgkmcnt(0)
	ds_store_b32 v1, v3
	v_cmpx_lt_i32_e64 v3, v4
	s_cbranch_execz .LBB18_45
; %bb.47:                               ;   in Loop: Header=BB18_46 Depth=1
	s_mov_b32 s23, 0
	.p2align	6
.LBB18_48:                              ;   Parent Loop BB18_46 Depth=1
                                        ; =>  This Inner Loop Header: Depth=2
	v_mul_hi_u32 v1, s14, v3
	s_delay_alu instid0(VALU_DEP_1) | instskip(SKIP_1) | instid1(VALU_DEP_2)
	v_add_nc_u32_e32 v1, v3, v1
	v_add_nc_u32_e32 v3, s13, v3
	v_lshrrev_b32_e32 v1, s15, v1
	s_delay_alu instid0(VALU_DEP_2) | instskip(NEXT) | instid1(VALU_DEP_2)
	v_cmp_ge_i32_e32 vcc_lo, v3, v4
	v_lshlrev_b64 v[11:12], 2, v[1:2]
	s_or_b32 s23, vcc_lo, s23
	s_delay_alu instid0(VALU_DEP_1) | instskip(NEXT) | instid1(VALU_DEP_1)
	v_add_co_u32 v11, s2, s10, v11
	v_add_co_ci_u32_e64 v12, s2, s11, v12, s2
	global_store_b32 v[11:12], v10, off
	s_and_not1_b32 exec_lo, exec_lo, s23
	s_cbranch_execnz .LBB18_48
	s_branch .LBB18_45
.LBB18_49:
	s_set_inst_prefetch_distance 0x2
	s_or_b32 exec_lo, exec_lo, s17
	s_add_i32 s2, s4, s3
	s_delay_alu instid0(SALU_CYCLE_1)
	v_dual_mov_b32 v1, s4 :: v_dual_mov_b32 v2, s2
	s_waitcnt lgkmcnt(0)
	s_waitcnt_vscnt null, 0x0
	s_barrier
	buffer_gl0_inv
	ds_load_b32 v1, v1
	s_and_not1_b32 vcc_lo, exec_lo, s22
	s_waitcnt lgkmcnt(0)
	ds_store_b32 v2, v1 offset:4
	s_cbranch_vccnz .LBB18_61
; %bb.50:
	s_add_u32 s10, s6, -4
	s_addc_u32 s11, s7, -1
	s_add_u32 s12, s30, -4
	s_addc_u32 s13, s31, -1
	s_add_u32 s14, s8, -4
	s_addc_u32 s15, s9, -1
	s_lshl_b32 s2, s20, 3
	v_and_b32_e32 v2, 8, v9
	v_add3_u32 v3, v8, s2, v7
	v_mul_lo_u32 v1, s16, v5
	v_cmp_gt_i32_e32 vcc_lo, s21, v5
	s_lshl_b32 s22, s20, 5
	v_cmp_eq_u32_e64 s2, 0, v2
	v_lshl_or_b32 v2, v0, 2, 28
	v_add3_u32 v3, v3, 0, 8
	s_mov_b32 s17, 0
	s_lshl_b32 s18, s16, 3
	s_add_i32 s22, s22, 32
	s_branch .LBB18_52
.LBB18_51:                              ;   in Loop: Header=BB18_52 Depth=1
	s_or_b32 exec_lo, exec_lo, s23
	v_add_nc_u32_e32 v1, s19, v1
	s_add_i32 s17, s17, s21
	s_waitcnt lgkmcnt(0)
	s_waitcnt_vscnt null, 0x0
	s_cmp_ge_i32 s17, s33
	s_barrier
	buffer_gl0_inv
	s_cbranch_scc1 .LBB18_61
.LBB18_52:                              ; =>This Loop Header: Depth=1
                                        ;     Child Loop BB18_56 Depth 2
                                        ;       Child Loop BB18_59 Depth 3
	s_and_saveexec_b32 s23, s0
	s_cbranch_execz .LBB18_51
; %bb.53:                               ;   in Loop: Header=BB18_52 Depth=1
	v_dual_mov_b32 v4, v3 :: v_dual_mov_b32 v7, v6
	s_mov_b32 s24, 0
	s_branch .LBB18_56
.LBB18_54:                              ;   in Loop: Header=BB18_56 Depth=2
	s_or_b32 exec_lo, exec_lo, s26
.LBB18_55:                              ;   in Loop: Header=BB18_56 Depth=2
	s_delay_alu instid0(SALU_CYCLE_1)
	s_or_b32 exec_lo, exec_lo, s25
	v_add_nc_u32_e32 v7, 32, v7
	v_add_nc_u32_e32 v4, 0x80, v4
	s_waitcnt lgkmcnt(0)
	ds_store_b32 v8, v9
	v_cmp_le_i32_e64 s3, s20, v7
	s_delay_alu instid0(VALU_DEP_1) | instskip(NEXT) | instid1(SALU_CYCLE_1)
	s_or_b32 s24, s3, s24
	s_and_not1_b32 exec_lo, exec_lo, s24
	s_cbranch_execz .LBB18_51
.LBB18_56:                              ;   Parent Loop BB18_52 Depth=1
                                        ; =>  This Loop Header: Depth=2
                                        ;       Child Loop BB18_59 Depth 3
	s_delay_alu instid0(VALU_DEP_1)
	v_lshl_add_u32 v8, v7, 2, 0
	ds_load_b32 v9, v8
	s_and_saveexec_b32 s25, vcc_lo
	s_cbranch_execz .LBB18_55
; %bb.57:                               ;   in Loop: Header=BB18_56 Depth=2
	v_dual_mov_b32 v10, v4 :: v_dual_mov_b32 v11, v1
	v_mov_b32_e32 v12, v5
	s_mov_b32 s26, 0
	s_branch .LBB18_59
.LBB18_58:                              ;   in Loop: Header=BB18_59 Depth=3
	s_or_b32 exec_lo, exec_lo, s4
	ds_bpermute_b32 v13, v2, v13
	v_add_nc_u32_e32 v12, 8, v12
	v_add_nc_u32_e32 v11, s18, v11
	v_add_nc_u32_e32 v10, s22, v10
	s_delay_alu instid0(VALU_DEP_3) | instskip(NEXT) | instid1(VALU_DEP_1)
	v_cmp_le_i32_e64 s3, s21, v12
	s_or_b32 s26, s3, s26
	s_waitcnt lgkmcnt(0)
	v_add_nc_u32_e32 v9, v13, v9
	s_and_not1_b32 exec_lo, exec_lo, s26
	s_cbranch_execz .LBB18_54
.LBB18_59:                              ;   Parent Loop BB18_52 Depth=1
                                        ;     Parent Loop BB18_56 Depth=2
                                        ; =>    This Inner Loop Header: Depth=3
	ds_load_b32 v14, v10
	s_waitcnt lgkmcnt(0)
	v_cmp_ne_u32_e64 s3, 0, v14
	s_delay_alu instid0(VALU_DEP_1) | instskip(NEXT) | instid1(VALU_DEP_1)
	v_cndmask_b32_e64 v13, 0, 1, s3
	v_mov_b32_dpp v13, v13 row_shr:1 row_mask:0xf bank_mask:0xf bound_ctrl:1
	s_delay_alu instid0(VALU_DEP_1) | instskip(NEXT) | instid1(VALU_DEP_1)
	v_add_co_ci_u32_e64 v15, s4, 0, v13, s3
	v_mov_b32_dpp v15, v15 row_shr:2 row_mask:0xf bank_mask:0xf bound_ctrl:1
	s_delay_alu instid0(VALU_DEP_1) | instskip(NEXT) | instid1(VALU_DEP_1)
	v_add_co_ci_u32_e64 v13, s4, v15, v13, s3
	v_add_nc_u32_dpp v13, v13, v13 row_shr:4 row_mask:0xf bank_mask:0xf bound_ctrl:1
	s_delay_alu instid0(VALU_DEP_1) | instskip(NEXT) | instid1(VALU_DEP_1)
	v_add_nc_u32_dpp v13, v13, v13 row_shr:8 row_mask:0xf bank_mask:0xf bound_ctrl:1
	v_mov_b32_dpp v15, v13 row_share:7 row_mask:0xf bank_mask:0xf bound_ctrl:1
	s_delay_alu instid0(VALU_DEP_1) | instskip(NEXT) | instid1(VALU_DEP_1)
	v_cndmask_b32_e64 v15, v15, 0, s2
	v_sub_nc_u32_e32 v13, v13, v15
	s_and_saveexec_b32 s4, s3
	s_cbranch_execz .LBB18_58
; %bb.60:                               ;   in Loop: Header=BB18_59 Depth=3
	v_add_nc_u32_e32 v15, v11, v14
	v_add_nc_u32_e32 v17, s17, v12
	s_delay_alu instid0(VALU_DEP_2) | instskip(NEXT) | instid1(VALU_DEP_2)
	v_ashrrev_i32_e32 v16, 31, v15
	v_perm_b32 v17, v14, v17, 0x4020100
	s_delay_alu instid0(VALU_DEP_2) | instskip(NEXT) | instid1(VALU_DEP_2)
	v_lshlrev_b64 v[15:16], 2, v[15:16]
	v_add_nc_u32_e32 v19, 0xff000000, v17
	s_delay_alu instid0(VALU_DEP_2) | instskip(NEXT) | instid1(VALU_DEP_1)
	v_add_co_u32 v15, s3, s12, v15
	v_add_co_ci_u32_e64 v16, s3, s13, v16, s3
	global_load_b32 v18, v[15:16], off
	v_add_nc_u32_e32 v15, v13, v9
	s_delay_alu instid0(VALU_DEP_1) | instskip(NEXT) | instid1(VALU_DEP_1)
	v_ashrrev_i32_e32 v16, 31, v15
	v_lshlrev_b64 v[14:15], 2, v[15:16]
	s_delay_alu instid0(VALU_DEP_1) | instskip(NEXT) | instid1(VALU_DEP_1)
	v_add_co_u32 v16, s3, s10, v14
	v_add_co_ci_u32_e64 v17, s3, s11, v15, s3
	v_add_co_u32 v14, s3, s14, v14
	s_delay_alu instid0(VALU_DEP_1)
	v_add_co_ci_u32_e64 v15, s3, s15, v15, s3
	global_store_b32 v[16:17], v19, off
	s_waitcnt vmcnt(0)
	global_store_b32 v[14:15], v18, off
	s_branch .LBB18_58
.LBB18_61:
	s_and_saveexec_b32 s0, s1
	s_cbranch_execz .LBB18_67
; %bb.62:
	v_mov_b32_e32 v6, 0
	s_and_b32 s0, s33, 0xffffff
	s_lshl_b32 s1, s16, 24
	s_add_i32 s5, s5, 4
	s_or_b32 s1, s0, s1
	s_mov_b32 s2, 0
	s_set_inst_prefetch_distance 0x1
	s_branch .LBB18_64
	.p2align	6
.LBB18_63:                              ;   in Loop: Header=BB18_64 Depth=1
	s_or_b32 exec_lo, exec_lo, s3
	v_add_nc_u32_e32 v0, 0x100, v0
	s_delay_alu instid0(VALU_DEP_1) | instskip(SKIP_1) | instid1(SALU_CYCLE_1)
	v_cmp_le_i32_e32 vcc_lo, s20, v0
	s_or_b32 s2, vcc_lo, s2
	s_and_not1_b32 exec_lo, exec_lo, s2
	s_cbranch_execz .LBB18_67
.LBB18_64:                              ; =>This Loop Header: Depth=1
                                        ;     Child Loop BB18_66 Depth 2
	v_lshlrev_b32_e32 v1, 2, v0
	s_mov_b32 s3, exec_lo
	s_delay_alu instid0(VALU_DEP_1)
	v_add_nc_u32_e32 v2, 0, v1
	v_add_nc_u32_e32 v3, s5, v1
	ds_load_b32 v1, v2
	ds_load_b32 v7, v3
	s_waitcnt lgkmcnt(0)
	v_cmpx_lt_i32_e64 v1, v7
	s_cbranch_execz .LBB18_63
; %bb.65:                               ;   in Loop: Header=BB18_64 Depth=1
	v_ashrrev_i32_e32 v2, 31, v1
	s_mov_b32 s4, 0
	s_delay_alu instid0(VALU_DEP_1) | instskip(NEXT) | instid1(VALU_DEP_1)
	v_lshlrev_b64 v[4:5], 2, v[1:2]
	v_add_co_u32 v2, vcc_lo, s6, v4
	s_delay_alu instid0(VALU_DEP_2)
	v_add_co_ci_u32_e32 v3, vcc_lo, s7, v5, vcc_lo
	v_add_co_u32 v4, vcc_lo, s8, v4
	v_add_co_ci_u32_e32 v5, vcc_lo, s9, v5, vcc_lo
	.p2align	6
.LBB18_66:                              ;   Parent Loop BB18_64 Depth=1
                                        ; =>  This Inner Loop Header: Depth=2
	v_dual_mov_b32 v8, s1 :: v_dual_add_nc_u32 v1, 1, v1
	global_store_b32 v[4:5], v6, off
	v_add_co_u32 v4, vcc_lo, v4, 4
	v_add_co_ci_u32_e32 v5, vcc_lo, 0, v5, vcc_lo
	global_store_b32 v[2:3], v8, off
	v_cmp_ge_i32_e32 vcc_lo, v1, v7
	v_add_co_u32 v2, s0, v2, 4
	s_delay_alu instid0(VALU_DEP_1) | instskip(SKIP_1) | instid1(SALU_CYCLE_1)
	v_add_co_ci_u32_e64 v3, s0, 0, v3, s0
	s_or_b32 s4, vcc_lo, s4
	s_and_not1_b32 exec_lo, exec_lo, s4
	s_cbranch_execnz .LBB18_66
	s_branch .LBB18_63
.LBB18_67:
	s_set_inst_prefetch_distance 0x2
	s_nop 0
	s_sendmsg sendmsg(MSG_DEALLOC_VGPRS)
	s_endpgm
	.section	.rodata,"a",@progbits
	.p2align	6, 0x0
	.amdhsa_kernel _ZN5aiter22opus_moe_sorting_entryINS_16MoeSortingKernelINS_19MoeSortingProblemExIifLi4ELb1ELb0ELb1ELb1ELi0EEEEENS4_5KargsEEEvT0_
		.amdhsa_group_segment_fixed_size 0
		.amdhsa_private_segment_fixed_size 0
		.amdhsa_kernarg_size 400
		.amdhsa_user_sgpr_count 15
		.amdhsa_user_sgpr_dispatch_ptr 0
		.amdhsa_user_sgpr_queue_ptr 0
		.amdhsa_user_sgpr_kernarg_segment_ptr 1
		.amdhsa_user_sgpr_dispatch_id 0
		.amdhsa_user_sgpr_private_segment_size 0
		.amdhsa_wavefront_size32 1
		.amdhsa_uses_dynamic_stack 0
		.amdhsa_enable_private_segment 0
		.amdhsa_system_sgpr_workgroup_id_x 1
		.amdhsa_system_sgpr_workgroup_id_y 0
		.amdhsa_system_sgpr_workgroup_id_z 0
		.amdhsa_system_sgpr_workgroup_info 0
		.amdhsa_system_vgpr_workitem_id 0
		.amdhsa_next_free_vgpr 27
		.amdhsa_next_free_sgpr 38
		.amdhsa_reserve_vcc 1
		.amdhsa_float_round_mode_32 0
		.amdhsa_float_round_mode_16_64 0
		.amdhsa_float_denorm_mode_32 3
		.amdhsa_float_denorm_mode_16_64 3
		.amdhsa_dx10_clamp 1
		.amdhsa_ieee_mode 1
		.amdhsa_fp16_overflow 0
		.amdhsa_workgroup_processor_mode 1
		.amdhsa_memory_ordered 1
		.amdhsa_forward_progress 0
		.amdhsa_shared_vgpr_count 0
		.amdhsa_exception_fp_ieee_invalid_op 0
		.amdhsa_exception_fp_denorm_src 0
		.amdhsa_exception_fp_ieee_div_zero 0
		.amdhsa_exception_fp_ieee_overflow 0
		.amdhsa_exception_fp_ieee_underflow 0
		.amdhsa_exception_fp_ieee_inexact 0
		.amdhsa_exception_int_div_zero 0
	.end_amdhsa_kernel
	.section	.text._ZN5aiter22opus_moe_sorting_entryINS_16MoeSortingKernelINS_19MoeSortingProblemExIifLi4ELb1ELb0ELb1ELb1ELi0EEEEENS4_5KargsEEEvT0_,"axG",@progbits,_ZN5aiter22opus_moe_sorting_entryINS_16MoeSortingKernelINS_19MoeSortingProblemExIifLi4ELb1ELb0ELb1ELb1ELi0EEEEENS4_5KargsEEEvT0_,comdat
.Lfunc_end18:
	.size	_ZN5aiter22opus_moe_sorting_entryINS_16MoeSortingKernelINS_19MoeSortingProblemExIifLi4ELb1ELb0ELb1ELb1ELi0EEEEENS4_5KargsEEEvT0_, .Lfunc_end18-_ZN5aiter22opus_moe_sorting_entryINS_16MoeSortingKernelINS_19MoeSortingProblemExIifLi4ELb1ELb0ELb1ELb1ELi0EEEEENS4_5KargsEEEvT0_
                                        ; -- End function
	.section	.AMDGPU.csdata,"",@progbits
; Kernel info:
; codeLenInByte = 3372
; NumSgprs: 40
; NumVgprs: 27
; ScratchSize: 0
; MemoryBound: 0
; FloatMode: 240
; IeeeMode: 1
; LDSByteSize: 0 bytes/workgroup (compile time only)
; SGPRBlocks: 4
; VGPRBlocks: 3
; NumSGPRsForWavesPerEU: 40
; NumVGPRsForWavesPerEU: 27
; Occupancy: 16
; WaveLimiterHint : 1
; COMPUTE_PGM_RSRC2:SCRATCH_EN: 0
; COMPUTE_PGM_RSRC2:USER_SGPR: 15
; COMPUTE_PGM_RSRC2:TRAP_HANDLER: 0
; COMPUTE_PGM_RSRC2:TGID_X_EN: 1
; COMPUTE_PGM_RSRC2:TGID_Y_EN: 0
; COMPUTE_PGM_RSRC2:TGID_Z_EN: 0
; COMPUTE_PGM_RSRC2:TIDIG_COMP_CNT: 0
	.section	.text._ZN5aiter22opus_moe_sorting_entryINS_16MoeSortingKernelINS_19MoeSortingProblemExIifLi2ELb1ELb0ELb1ELb1ELi0EEEEENS4_5KargsEEEvT0_,"axG",@progbits,_ZN5aiter22opus_moe_sorting_entryINS_16MoeSortingKernelINS_19MoeSortingProblemExIifLi2ELb1ELb0ELb1ELb1ELi0EEEEENS4_5KargsEEEvT0_,comdat
	.protected	_ZN5aiter22opus_moe_sorting_entryINS_16MoeSortingKernelINS_19MoeSortingProblemExIifLi2ELb1ELb0ELb1ELb1ELi0EEEEENS4_5KargsEEEvT0_ ; -- Begin function _ZN5aiter22opus_moe_sorting_entryINS_16MoeSortingKernelINS_19MoeSortingProblemExIifLi2ELb1ELb0ELb1ELb1ELi0EEEEENS4_5KargsEEEvT0_
	.globl	_ZN5aiter22opus_moe_sorting_entryINS_16MoeSortingKernelINS_19MoeSortingProblemExIifLi2ELb1ELb0ELb1ELb1ELi0EEEEENS4_5KargsEEEvT0_
	.p2align	8
	.type	_ZN5aiter22opus_moe_sorting_entryINS_16MoeSortingKernelINS_19MoeSortingProblemExIifLi2ELb1ELb0ELb1ELb1ELi0EEEEENS4_5KargsEEEvT0_,@function
_ZN5aiter22opus_moe_sorting_entryINS_16MoeSortingKernelINS_19MoeSortingProblemExIifLi2ELb1ELb0ELb1ELb1ELi0EEEEENS4_5KargsEEEvT0_: ; @_ZN5aiter22opus_moe_sorting_entryINS_16MoeSortingKernelINS_19MoeSortingProblemExIifLi2ELb1ELb0ELb1ELb1ELi0EEEEENS4_5KargsEEEvT0_
; %bb.0:
	s_clause 0x3
	s_load_b256 s[4:11], s[0:1], 0x18
	s_load_b128 s[24:27], s[0:1], 0x38
	s_load_b64 s[34:35], s[0:1], 0x48
	s_load_b128 s[20:23], s[0:1], 0x54
	s_cmp_eq_u32 s15, 0
	s_waitcnt lgkmcnt(0)
	s_load_b32 s33, s[4:5], 0x0
	s_cbranch_scc1 .LBB19_7
; %bb.1:
	s_cmp_eq_u64 s[26:27], 0
	s_cbranch_scc1 .LBB19_6
; %bb.2:
	s_waitcnt lgkmcnt(0)
	s_ashr_i32 s2, s33, 31
	s_mul_i32 s3, s22, s21
	s_mul_hi_i32 s5, s22, s21
	s_mul_i32 s2, s3, s2
	s_mul_hi_u32 s4, s3, s33
	s_mul_i32 s5, s5, s33
	s_add_i32 s2, s4, s2
	s_mul_i32 s3, s3, s33
	s_add_i32 s4, s2, s5
	v_mov_b32_e32 v2, 0
	s_ashr_i32 s2, s4, 31
	s_mov_b32 s13, 0
	s_lshr_b32 s2, s2, 28
	s_delay_alu instid0(SALU_CYCLE_1) | instskip(SKIP_2) | instid1(SALU_CYCLE_1)
	s_add_u32 s2, s3, s2
	s_addc_u32 s3, s4, 0
	s_lshl_b32 s4, s15, 8
	v_add3_u32 v1, v0, s4, 0xffffff00
	s_ashr_i64 s[4:5], s[2:3], 4
	s_mov_b32 s3, exec_lo
	s_delay_alu instid0(VALU_DEP_1)
	v_cmpx_gt_i64_e64 s[4:5], v[1:2]
	s_cbranch_execz .LBB19_5
; %bb.3:
	s_load_b32 s2, s[0:1], 0x90
	v_lshlrev_b64 v[3:4], 4, v[1:2]
	v_dual_mov_b32 v6, v2 :: v_dual_mov_b32 v5, v1
	v_mov_b32_e32 v1, v2
	s_delay_alu instid0(VALU_DEP_3) | instskip(NEXT) | instid1(VALU_DEP_4)
	v_add_co_u32 v7, vcc_lo, s26, v3
	v_add_co_ci_u32_e32 v8, vcc_lo, s27, v4, vcc_lo
	v_mov_b32_e32 v3, v2
	v_mov_b32_e32 v4, v2
	s_waitcnt lgkmcnt(0)
	s_lshl_b32 s2, s2, 8
	s_delay_alu instid0(SALU_CYCLE_1) | instskip(NEXT) | instid1(SALU_CYCLE_1)
	s_add_i32 s12, s2, 0xffffff00
	s_lshl_b64 s[14:15], s[12:13], 4
.LBB19_4:                               ; =>This Inner Loop Header: Depth=1
	v_add_co_u32 v5, vcc_lo, v5, s12
	v_add_co_ci_u32_e32 v6, vcc_lo, 0, v6, vcc_lo
	global_store_b128 v[7:8], v[1:4], off
	v_add_co_u32 v7, s2, v7, s14
	v_cmp_le_i64_e32 vcc_lo, s[4:5], v[5:6]
	v_add_co_ci_u32_e64 v8, s2, s15, v8, s2
	s_or_b32 s13, vcc_lo, s13
	s_delay_alu instid0(SALU_CYCLE_1)
	s_and_not1_b32 exec_lo, exec_lo, s13
	s_cbranch_execnz .LBB19_4
.LBB19_5:
	s_or_b32 exec_lo, exec_lo, s3
.LBB19_6:
	s_cbranch_execz .LBB19_8
	s_branch .LBB19_67
.LBB19_7:
.LBB19_8:
	s_clause 0x1
	s_load_b256 s[12:19], s[0:1], 0x64
	s_load_b64 s[2:3], s[0:1], 0x84
	v_lshrrev_b32_e32 v1, 5, v0
	s_add_i32 s27, s20, 1
	s_mov_b32 s29, exec_lo
	s_delay_alu instid0(VALU_DEP_1) | instskip(SKIP_2) | instid1(SALU_CYCLE_1)
	v_readfirstlane_b32 s26, v1
	s_waitcnt lgkmcnt(0)
	s_add_i32 s21, s12, -2
	s_mul_i32 s28, s21, s20
	s_delay_alu instid0(SALU_CYCLE_1)
	v_cmpx_gt_i32_e64 s28, v0
	s_cbranch_execz .LBB19_11
; %bb.9:
	v_dual_mov_b32 v4, 0 :: v_dual_lshlrev_b32 v3, 2, v0
	s_lshl_b32 s4, s20, 3
	v_mad_u64_u32 v[1:2], null, v0, s2, 0
	s_add_i32 s4, s4, 0
	v_mov_b32_e32 v5, v0
	v_add3_u32 v3, s4, v3, 8
	s_mov_b32 s5, 0
	s_sub_i32 s19, s27, s19
	s_mov_b32 s4, s2
	s_lshl_b32 s19, s19, 2
	s_lshl_b64 s[22:23], s[4:5], 8
	.p2align	6
.LBB19_10:                              ; =>This Inner Loop Header: Depth=1
	v_add_nc_u32_e32 v6, v5, v2
	v_add_nc_u32_e32 v5, 0x100, v5
	v_add_co_u32 v1, vcc_lo, v1, s22
	v_add_co_ci_u32_e32 v2, vcc_lo, s23, v2, vcc_lo
	s_delay_alu instid0(VALU_DEP_4) | instskip(NEXT) | instid1(VALU_DEP_4)
	v_lshrrev_b32_e32 v8, s3, v6
	v_cmp_le_i32_e64 s2, s28, v5
	s_delay_alu instid0(VALU_DEP_2) | instskip(SKIP_1) | instid1(VALU_DEP_3)
	v_mad_u64_u32 v[6:7], null, s19, v8, v[3:4]
	v_add_nc_u32_e32 v3, 0x400, v3
	s_or_b32 s5, s2, s5
	ds_store_b32 v6, v4
	s_and_not1_b32 exec_lo, exec_lo, s5
	s_cbranch_execnz .LBB19_10
.LBB19_11:
	s_or_b32 exec_lo, exec_lo, s29
	s_load_b128 s[28:31], s[0:1], 0x0
	s_cmp_gt_i32 s33, 0
	s_mov_b32 s3, 0
	s_cselect_b32 s22, -1, 0
	s_cmp_lt_i32 s33, 1
	s_mul_i32 s19, s16, s21
	s_waitcnt lgkmcnt(0)
	s_waitcnt_vscnt null, 0x0
	s_barrier
	buffer_gl0_inv
	s_cbranch_scc1 .LBB19_19
; %bb.12:
	v_mad_u64_u32 v[1:2], null, v0, s17, 0
	v_cmp_gt_i32_e32 vcc_lo, s19, v0
	v_mov_b32_e32 v4, 0
	s_lshl_b32 s0, s27, 3
	s_mov_b32 s2, s17
	s_add_i32 s23, s0, 0
	s_sub_i32 s17, 0, s16
	s_lshl_b64 s[4:5], s[2:3], 8
	s_mov_b32 s2, 0
	s_branch .LBB19_14
.LBB19_13:                              ;   in Loop: Header=BB19_14 Depth=1
	s_set_inst_prefetch_distance 0x2
	s_or_b32 exec_lo, exec_lo, s36
	s_add_i32 s2, s2, s21
	s_add_i32 s3, s3, s19
	s_cmp_ge_i32 s2, s33
	s_waitcnt lgkmcnt(0)
	s_barrier
	buffer_gl0_inv
	s_cbranch_scc1 .LBB19_19
.LBB19_14:                              ; =>This Loop Header: Depth=1
                                        ;     Child Loop BB19_17 Depth 2
	s_and_saveexec_b32 s36, vcc_lo
	s_cbranch_execz .LBB19_13
; %bb.15:                               ;   in Loop: Header=BB19_14 Depth=1
	v_dual_mov_b32 v6, v2 :: v_dual_mov_b32 v5, v1
	v_mov_b32_e32 v7, v0
	s_mov_b32 s37, 0
	s_set_inst_prefetch_distance 0x1
	s_branch .LBB19_17
	.p2align	6
.LBB19_16:                              ;   in Loop: Header=BB19_17 Depth=2
	s_or_b32 exec_lo, exec_lo, s1
	v_add_nc_u32_e32 v7, 0x100, v7
	v_add_co_u32 v5, s1, v5, s4
	s_delay_alu instid0(VALU_DEP_1) | instskip(NEXT) | instid1(VALU_DEP_3)
	v_add_co_ci_u32_e64 v6, s1, s5, v6, s1
	v_cmp_le_i32_e64 s0, s19, v7
	s_waitcnt vmcnt(48) lgkmcnt(7)
	s_delay_alu instid0(VALU_DEP_1) | instskip(NEXT) | instid1(SALU_CYCLE_1)
	s_or_b32 s37, s0, s37
	s_and_not1_b32 exec_lo, exec_lo, s37
	s_cbranch_execz .LBB19_13
.LBB19_17:                              ;   Parent Loop BB19_14 Depth=1
                                        ; =>  This Inner Loop Header: Depth=2
	s_delay_alu instid0(VALU_DEP_1) | instskip(SKIP_1) | instid1(VALU_DEP_1)
	v_add_nc_u32_e32 v3, v7, v6
	s_mov_b32 s1, exec_lo
	v_lshrrev_b32_e32 v8, s18, v3
	s_delay_alu instid0(VALU_DEP_1) | instskip(NEXT) | instid1(VALU_DEP_1)
	v_add_nc_u32_e32 v3, s2, v8
	v_cmpx_gt_i32_e64 s33, v3
	s_cbranch_execz .LBB19_16
; %bb.18:                               ;   in Loop: Header=BB19_17 Depth=2
	v_add_nc_u32_e32 v3, s3, v7
	s_delay_alu instid0(VALU_DEP_1) | instskip(NEXT) | instid1(VALU_DEP_1)
	v_lshlrev_b64 v[9:10], 2, v[3:4]
	v_add_co_u32 v9, s0, s28, v9
	s_delay_alu instid0(VALU_DEP_1) | instskip(SKIP_3) | instid1(VALU_DEP_2)
	v_add_co_ci_u32_e64 v10, s0, s29, v10, s0
	global_load_b32 v3, v[9:10], off
	v_mul_lo_u32 v9, v8, s27
	v_mul_lo_u32 v8, s17, v8
	v_lshlrev_b32_e32 v9, 2, v9
	s_delay_alu instid0(VALU_DEP_2) | instskip(SKIP_2) | instid1(VALU_DEP_1)
	v_add3_u32 v8, v7, v8, 1
	s_waitcnt vmcnt(0)
	v_lshlrev_b32_e32 v3, 2, v3
	v_add3_u32 v3, s23, v3, v9
	ds_store_b32 v3, v8
	s_branch .LBB19_16
.LBB19_19:
	s_mov_b32 s0, exec_lo
	v_cmpx_eq_u32_e32 0, v0
	s_cbranch_execz .LBB19_21
; %bb.20:
	v_mov_b32_e32 v1, 0
	ds_store_b32 v1, v1
.LBB19_21:
	s_or_b32 exec_lo, exec_lo, s0
	v_and_b32_e32 v5, 7, v0
	v_lshrrev_b32_e32 v6, 3, v0
	v_mbcnt_lo_u32_b32 v9, -1, 0
	s_mov_b32 s5, 0
	s_delay_alu instid0(VALU_DEP_3) | instskip(NEXT) | instid1(VALU_DEP_3)
	v_mul_lo_u32 v1, s27, v5
	v_cmp_gt_i32_e64 s0, s20, v6
	v_lshlrev_b32_e32 v8, 2, v6
	s_delay_alu instid0(VALU_DEP_3) | instskip(NEXT) | instid1(VALU_DEP_3)
	v_lshlrev_b32_e32 v7, 2, v1
	s_and_saveexec_b32 s4, s0
	s_cbranch_execz .LBB19_29
; %bb.22:
	s_cmp_gt_i32 s12, 2
	s_mul_i32 s1, s20, 40
	s_cselect_b32 s12, -1, 0
	s_lshl_b32 s2, s20, 3
	v_lshlrev_b32_e32 v3, 2, v9
	v_add3_u32 v4, v7, s1, v8
	v_add3_u32 v10, v7, s2, v8
	v_cmp_eq_u32_e64 s1, 0, v5
	v_mov_b32_e32 v11, v6
	v_xor_b32_e32 v1, 4, v3
	v_xor_b32_e32 v2, 8, v3
	;; [unrolled: 1-line block ×3, first 2 shown]
	v_add3_u32 v4, v4, 0, 40
	v_add3_u32 v10, v10, 0, 8
	s_lshl_b32 s17, s20, 6
	s_delay_alu instid0(SALU_CYCLE_1)
	s_add_i32 s17, s17, 64
	s_branch .LBB19_24
.LBB19_23:                              ;   in Loop: Header=BB19_24 Depth=1
	s_or_b32 exec_lo, exec_lo, s2
	v_add_nc_u32_e32 v11, 32, v11
	v_add_nc_u32_e32 v4, 0x80, v4
	;; [unrolled: 1-line block ×3, first 2 shown]
	s_delay_alu instid0(VALU_DEP_3) | instskip(SKIP_1) | instid1(SALU_CYCLE_1)
	v_cmp_le_i32_e32 vcc_lo, s20, v11
	s_or_b32 s5, vcc_lo, s5
	s_and_not1_b32 exec_lo, exec_lo, s5
	s_cbranch_execz .LBB19_29
.LBB19_24:                              ; =>This Loop Header: Depth=1
                                        ;     Child Loop BB19_26 Depth 2
	v_mov_b32_e32 v12, 0
	s_and_not1_b32 vcc_lo, exec_lo, s12
	s_cbranch_vccnz .LBB19_27
; %bb.25:                               ;   in Loop: Header=BB19_24 Depth=1
	v_mov_b32_e32 v12, 0
	s_mov_b32 s18, 0
	s_mov_b32 s23, 0
	s_set_inst_prefetch_distance 0x1
	.p2align	6
.LBB19_26:                              ;   Parent Loop BB19_24 Depth=1
                                        ; =>  This Inner Loop Header: Depth=2
	v_add_nc_u32_e32 v13, s18, v10
	v_add_nc_u32_e32 v14, s18, v4
	s_add_i32 s23, s23, 16
	s_add_i32 s18, s18, s17
	s_cmp_lt_i32 s23, s21
	ds_load_b32 v13, v13
	ds_load_b32 v14, v14
	s_waitcnt lgkmcnt(1)
	v_cmp_ne_u32_e32 vcc_lo, 0, v13
	s_waitcnt lgkmcnt(0)
	v_cmp_ne_u32_e64 s2, 0, v14
	v_cndmask_b32_e64 v13, 0, 1, vcc_lo
	s_delay_alu instid0(VALU_DEP_2)
	v_cndmask_b32_e64 v14, 0, 1, s2
	ds_bpermute_b32 v13, v1, v13
	ds_bpermute_b32 v14, v1, v14
	s_waitcnt lgkmcnt(1)
	v_add_co_ci_u32_e64 v15, s3, 0, v13, vcc_lo
	s_waitcnt lgkmcnt(0)
	v_add_co_ci_u32_e64 v16, s3, 0, v14, s2
	ds_bpermute_b32 v15, v2, v15
	ds_bpermute_b32 v16, v2, v16
	s_waitcnt lgkmcnt(1)
	v_add_co_ci_u32_e32 v13, vcc_lo, v15, v13, vcc_lo
	s_waitcnt lgkmcnt(0)
	v_add_co_ci_u32_e64 v14, vcc_lo, v16, v14, s2
	ds_bpermute_b32 v15, v3, v13
	ds_bpermute_b32 v16, v3, v14
	s_waitcnt lgkmcnt(1)
	v_add3_u32 v12, v13, v12, v15
	s_waitcnt lgkmcnt(0)
	s_delay_alu instid0(VALU_DEP_1)
	v_add3_u32 v12, v12, v14, v16
	s_cbranch_scc1 .LBB19_26
.LBB19_27:                              ;   in Loop: Header=BB19_24 Depth=1
	s_set_inst_prefetch_distance 0x2
	s_and_saveexec_b32 s2, s1
	s_cbranch_execz .LBB19_23
; %bb.28:                               ;   in Loop: Header=BB19_24 Depth=1
	v_lshl_add_u32 v13, v11, 2, 0
	ds_store_b32 v13, v12 offset:4
	s_branch .LBB19_23
.LBB19_29:
	s_or_b32 exec_lo, exec_lo, s4
	s_cmp_lg_u32 s26, 0
	s_mov_b32 s3, 0
	s_waitcnt lgkmcnt(0)
	s_barrier
	buffer_gl0_inv
	s_cbranch_scc1 .LBB19_38
; %bb.30:
	v_mov_b32_e32 v1, 0
	s_cmp_lt_i32 s20, 1
	s_cbranch_scc1 .LBB19_35
; %bb.31:
	v_lshlrev_b32_e32 v1, 2, v9
	v_cmp_eq_u32_e32 vcc_lo, 0, v9
	v_cmp_lt_u32_e64 s1, 15, v9
	s_add_i32 s4, s13, -1
	s_delay_alu instid0(VALU_DEP_3) | instskip(SKIP_1) | instid1(VALU_DEP_2)
	v_and_b32_e32 v2, 64, v1
	v_add3_u32 v3, v1, 0, 4
	v_add_nc_u32_e32 v2, -4, v2
	s_set_inst_prefetch_distance 0x1
	s_branch .LBB19_33
	.p2align	6
.LBB19_32:                              ;   in Loop: Header=BB19_33 Depth=1
	s_or_b32 exec_lo, exec_lo, s5
	v_add_nc_u32_e32 v3, 0x80, v3
	s_add_i32 s3, s3, 32
	s_waitcnt vmcnt(48) lgkmcnt(7)
	s_cmp_lt_i32 s3, s20
	s_cbranch_scc0 .LBB19_35
.LBB19_33:                              ; =>This Inner Loop Header: Depth=1
	ds_load_b32 v1, v3
	v_cndmask_b32_e64 v4, 0, s3, vcc_lo
	s_mov_b32 s5, exec_lo
	s_delay_alu instid0(VALU_DEP_1) | instskip(SKIP_4) | instid1(VALU_DEP_1)
	v_lshl_add_u32 v4, v4, 2, 0
	s_waitcnt lgkmcnt(0)
	v_add_nc_u32_e32 v10, s4, v1
	ds_load_b32 v1, v4
	v_mul_hi_u32 v4, v10, s14
	v_add_nc_u32_e32 v4, v10, v4
	s_delay_alu instid0(VALU_DEP_1) | instskip(SKIP_1) | instid1(VALU_DEP_1)
	v_lshrrev_b32_e32 v4, s15, v4
	s_waitcnt lgkmcnt(0)
	v_mad_u64_u32 v[10:11], null, v4, s13, v[1:2]
	s_delay_alu instid0(VALU_DEP_1) | instskip(SKIP_1) | instid1(VALU_DEP_2)
	v_add_nc_u32_dpp v1, v10, v10 row_shr:1 row_mask:0xf bank_mask:0xf bound_ctrl:1
	v_add_nc_u32_e32 v10, s3, v9
	v_add_nc_u32_dpp v1, v1, v1 row_shr:2 row_mask:0xf bank_mask:0xf bound_ctrl:1
	s_delay_alu instid0(VALU_DEP_1) | instskip(NEXT) | instid1(VALU_DEP_1)
	v_add_nc_u32_dpp v1, v1, v1 row_shr:4 row_mask:0xf bank_mask:0xf bound_ctrl:1
	v_add_nc_u32_dpp v1, v1, v1 row_shr:8 row_mask:0xf bank_mask:0xf bound_ctrl:1
	ds_bpermute_b32 v4, v2, v1
	s_waitcnt lgkmcnt(0)
	v_cndmask_b32_e64 v4, 0, v4, s1
	s_delay_alu instid0(VALU_DEP_1)
	v_add_nc_u32_e32 v1, v1, v4
	v_cmpx_gt_i32_e64 s20, v10
	s_cbranch_execz .LBB19_32
; %bb.34:                               ;   in Loop: Header=BB19_33 Depth=1
	ds_store_b32 v3, v1
	s_branch .LBB19_32
.LBB19_35:
	s_set_inst_prefetch_distance 0x2
	v_add3_u32 v2, v9, s3, 0xffffffe1
	s_mov_b32 s1, exec_lo
	s_delay_alu instid0(VALU_DEP_1)
	v_cmpx_eq_u32_e64 s20, v2
	s_cbranch_execz .LBB19_37
; %bb.36:
	v_dual_mov_b32 v3, 0 :: v_dual_mov_b32 v2, s33
	global_store_b64 v3, v[1:2], s[24:25]
.LBB19_37:
	s_or_b32 exec_lo, exec_lo, s1
.LBB19_38:
	s_cmp_eq_u64 s[34:35], 0
	s_waitcnt lgkmcnt(0)
	s_waitcnt_vscnt null, 0x0
	s_barrier
	buffer_gl0_inv
	s_cbranch_scc1 .LBB19_43
; %bb.39:
	s_mul_i32 s2, s33, s16
	s_mov_b32 s3, exec_lo
	v_cmpx_gt_i32_e64 s2, v0
	s_cbranch_execz .LBB19_42
; %bb.40:
	v_dual_mov_b32 v10, v0 :: v_dual_lshlrev_b32 v3, 2, v0
	s_mov_b32 s4, 0
	s_delay_alu instid0(VALU_DEP_1) | instskip(NEXT) | instid1(VALU_DEP_1)
	v_add_co_u32 v1, s1, s28, v3
	v_add_co_ci_u32_e64 v2, null, s29, 0, s1
	v_add_co_u32 v3, s1, s34, v3
	s_delay_alu instid0(VALU_DEP_1)
	v_add_co_ci_u32_e64 v4, null, s35, 0, s1
	.p2align	6
.LBB19_41:                              ; =>This Inner Loop Header: Depth=1
	global_load_b32 v11, v[1:2], off
	v_add_nc_u32_e32 v10, 0x100, v10
	v_add_co_u32 v1, vcc_lo, 0x400, v1
	v_add_co_ci_u32_e32 v2, vcc_lo, 0, v2, vcc_lo
	s_delay_alu instid0(VALU_DEP_3) | instskip(SKIP_4) | instid1(VALU_DEP_1)
	v_cmp_le_i32_e32 vcc_lo, s2, v10
	s_or_b32 s4, vcc_lo, s4
	s_waitcnt vmcnt(0)
	global_store_b32 v[3:4], v11, off
	v_add_co_u32 v3, s1, 0x400, v3
	v_add_co_ci_u32_e64 v4, s1, 0, v4, s1
	s_and_not1_b32 exec_lo, exec_lo, s4
	s_cbranch_execnz .LBB19_41
.LBB19_42:
	s_or_b32 exec_lo, exec_lo, s3
	s_waitcnt_vscnt null, 0x0
	s_barrier
	buffer_gl0_inv
.LBB19_43:
	s_lshl_b32 s3, s20, 2
	v_cmp_gt_i32_e64 s1, s20, v0
	s_add_i32 s4, s3, 0
	s_mov_b32 s12, 0
	s_add_i32 s5, s4, 4
	s_delay_alu instid0(VALU_DEP_1)
	s_and_saveexec_b32 s17, s1
	s_cbranch_execz .LBB19_49
; %bb.44:
	v_mov_b32_e32 v2, 0
	v_mov_b32_e32 v10, v0
	s_set_inst_prefetch_distance 0x1
	s_branch .LBB19_46
	.p2align	6
.LBB19_45:                              ;   in Loop: Header=BB19_46 Depth=1
	s_or_b32 exec_lo, exec_lo, s18
	v_add_nc_u32_e32 v10, 0x100, v10
	s_delay_alu instid0(VALU_DEP_1) | instskip(SKIP_1) | instid1(SALU_CYCLE_1)
	v_cmp_le_i32_e32 vcc_lo, s20, v10
	s_or_b32 s12, vcc_lo, s12
	s_and_not1_b32 exec_lo, exec_lo, s12
	s_cbranch_execz .LBB19_49
.LBB19_46:                              ; =>This Loop Header: Depth=1
                                        ;     Child Loop BB19_48 Depth 2
	s_delay_alu instid0(VALU_DEP_1) | instskip(SKIP_1) | instid1(VALU_DEP_1)
	v_lshlrev_b32_e32 v1, 2, v10
	s_mov_b32 s18, exec_lo
	v_add_nc_u32_e32 v3, 0, v1
	v_add_nc_u32_e32 v1, s5, v1
	ds_load_2addr_b32 v[3:4], v3 offset1:1
	s_waitcnt lgkmcnt(0)
	ds_store_b32 v1, v3
	v_cmpx_lt_i32_e64 v3, v4
	s_cbranch_execz .LBB19_45
; %bb.47:                               ;   in Loop: Header=BB19_46 Depth=1
	s_mov_b32 s23, 0
	.p2align	6
.LBB19_48:                              ;   Parent Loop BB19_46 Depth=1
                                        ; =>  This Inner Loop Header: Depth=2
	v_mul_hi_u32 v1, s14, v3
	s_delay_alu instid0(VALU_DEP_1) | instskip(SKIP_1) | instid1(VALU_DEP_2)
	v_add_nc_u32_e32 v1, v3, v1
	v_add_nc_u32_e32 v3, s13, v3
	v_lshrrev_b32_e32 v1, s15, v1
	s_delay_alu instid0(VALU_DEP_2) | instskip(NEXT) | instid1(VALU_DEP_2)
	v_cmp_ge_i32_e32 vcc_lo, v3, v4
	v_lshlrev_b64 v[11:12], 2, v[1:2]
	s_or_b32 s23, vcc_lo, s23
	s_delay_alu instid0(VALU_DEP_1) | instskip(NEXT) | instid1(VALU_DEP_1)
	v_add_co_u32 v11, s2, s10, v11
	v_add_co_ci_u32_e64 v12, s2, s11, v12, s2
	global_store_b32 v[11:12], v10, off
	s_and_not1_b32 exec_lo, exec_lo, s23
	s_cbranch_execnz .LBB19_48
	s_branch .LBB19_45
.LBB19_49:
	s_set_inst_prefetch_distance 0x2
	s_or_b32 exec_lo, exec_lo, s17
	s_add_i32 s2, s4, s3
	s_delay_alu instid0(SALU_CYCLE_1)
	v_dual_mov_b32 v1, s4 :: v_dual_mov_b32 v2, s2
	s_waitcnt lgkmcnt(0)
	s_waitcnt_vscnt null, 0x0
	s_barrier
	buffer_gl0_inv
	ds_load_b32 v1, v1
	s_and_not1_b32 vcc_lo, exec_lo, s22
	s_waitcnt lgkmcnt(0)
	ds_store_b32 v2, v1 offset:4
	s_cbranch_vccnz .LBB19_61
; %bb.50:
	s_add_u32 s10, s6, -4
	s_addc_u32 s11, s7, -1
	s_add_u32 s12, s30, -4
	s_addc_u32 s13, s31, -1
	;; [unrolled: 2-line block ×3, first 2 shown]
	s_lshl_b32 s2, s20, 3
	v_and_b32_e32 v2, 8, v9
	v_add3_u32 v3, v7, s2, v8
	v_mul_lo_u32 v1, s16, v5
	v_cmp_gt_i32_e32 vcc_lo, s21, v5
	s_lshl_b32 s22, s20, 5
	v_cmp_eq_u32_e64 s2, 0, v2
	v_lshl_or_b32 v2, v0, 2, 28
	v_add3_u32 v3, v3, 0, 8
	s_mov_b32 s17, 0
	s_lshl_b32 s18, s16, 3
	s_add_i32 s22, s22, 32
	s_branch .LBB19_52
.LBB19_51:                              ;   in Loop: Header=BB19_52 Depth=1
	s_or_b32 exec_lo, exec_lo, s23
	v_add_nc_u32_e32 v1, s19, v1
	s_add_i32 s17, s17, s21
	s_waitcnt lgkmcnt(0)
	s_waitcnt_vscnt null, 0x0
	s_cmp_ge_i32 s17, s33
	s_barrier
	buffer_gl0_inv
	s_cbranch_scc1 .LBB19_61
.LBB19_52:                              ; =>This Loop Header: Depth=1
                                        ;     Child Loop BB19_56 Depth 2
                                        ;       Child Loop BB19_59 Depth 3
	s_and_saveexec_b32 s23, s0
	s_cbranch_execz .LBB19_51
; %bb.53:                               ;   in Loop: Header=BB19_52 Depth=1
	v_dual_mov_b32 v4, v3 :: v_dual_mov_b32 v7, v6
	s_mov_b32 s24, 0
	s_branch .LBB19_56
.LBB19_54:                              ;   in Loop: Header=BB19_56 Depth=2
	s_or_b32 exec_lo, exec_lo, s26
.LBB19_55:                              ;   in Loop: Header=BB19_56 Depth=2
	s_delay_alu instid0(SALU_CYCLE_1)
	s_or_b32 exec_lo, exec_lo, s25
	v_add_nc_u32_e32 v7, 32, v7
	v_add_nc_u32_e32 v4, 0x80, v4
	s_waitcnt lgkmcnt(0)
	ds_store_b32 v8, v9
	v_cmp_le_i32_e64 s3, s20, v7
	s_delay_alu instid0(VALU_DEP_1) | instskip(NEXT) | instid1(SALU_CYCLE_1)
	s_or_b32 s24, s3, s24
	s_and_not1_b32 exec_lo, exec_lo, s24
	s_cbranch_execz .LBB19_51
.LBB19_56:                              ;   Parent Loop BB19_52 Depth=1
                                        ; =>  This Loop Header: Depth=2
                                        ;       Child Loop BB19_59 Depth 3
	s_delay_alu instid0(VALU_DEP_1)
	v_lshl_add_u32 v8, v7, 2, 0
	ds_load_b32 v9, v8
	s_and_saveexec_b32 s25, vcc_lo
	s_cbranch_execz .LBB19_55
; %bb.57:                               ;   in Loop: Header=BB19_56 Depth=2
	v_dual_mov_b32 v10, v4 :: v_dual_mov_b32 v11, v1
	v_mov_b32_e32 v12, v5
	s_mov_b32 s26, 0
	s_branch .LBB19_59
.LBB19_58:                              ;   in Loop: Header=BB19_59 Depth=3
	s_or_b32 exec_lo, exec_lo, s4
	ds_bpermute_b32 v13, v2, v13
	v_add_nc_u32_e32 v12, 8, v12
	v_add_nc_u32_e32 v11, s18, v11
	v_add_nc_u32_e32 v10, s22, v10
	s_delay_alu instid0(VALU_DEP_3) | instskip(NEXT) | instid1(VALU_DEP_1)
	v_cmp_le_i32_e64 s3, s21, v12
	s_or_b32 s26, s3, s26
	s_waitcnt lgkmcnt(0)
	v_add_nc_u32_e32 v9, v13, v9
	s_and_not1_b32 exec_lo, exec_lo, s26
	s_cbranch_execz .LBB19_54
.LBB19_59:                              ;   Parent Loop BB19_52 Depth=1
                                        ;     Parent Loop BB19_56 Depth=2
                                        ; =>    This Inner Loop Header: Depth=3
	ds_load_b32 v14, v10
	s_waitcnt lgkmcnt(0)
	v_cmp_ne_u32_e64 s3, 0, v14
	s_delay_alu instid0(VALU_DEP_1) | instskip(NEXT) | instid1(VALU_DEP_1)
	v_cndmask_b32_e64 v13, 0, 1, s3
	v_mov_b32_dpp v13, v13 row_shr:1 row_mask:0xf bank_mask:0xf bound_ctrl:1
	s_delay_alu instid0(VALU_DEP_1) | instskip(NEXT) | instid1(VALU_DEP_1)
	v_add_co_ci_u32_e64 v15, s4, 0, v13, s3
	v_mov_b32_dpp v15, v15 row_shr:2 row_mask:0xf bank_mask:0xf bound_ctrl:1
	s_delay_alu instid0(VALU_DEP_1) | instskip(NEXT) | instid1(VALU_DEP_1)
	v_add_co_ci_u32_e64 v13, s4, v15, v13, s3
	v_add_nc_u32_dpp v13, v13, v13 row_shr:4 row_mask:0xf bank_mask:0xf bound_ctrl:1
	s_delay_alu instid0(VALU_DEP_1) | instskip(NEXT) | instid1(VALU_DEP_1)
	v_add_nc_u32_dpp v13, v13, v13 row_shr:8 row_mask:0xf bank_mask:0xf bound_ctrl:1
	v_mov_b32_dpp v15, v13 row_share:7 row_mask:0xf bank_mask:0xf bound_ctrl:1
	s_delay_alu instid0(VALU_DEP_1) | instskip(NEXT) | instid1(VALU_DEP_1)
	v_cndmask_b32_e64 v15, v15, 0, s2
	v_sub_nc_u32_e32 v13, v13, v15
	s_and_saveexec_b32 s4, s3
	s_cbranch_execz .LBB19_58
; %bb.60:                               ;   in Loop: Header=BB19_59 Depth=3
	v_add_nc_u32_e32 v15, v11, v14
	v_add_nc_u32_e32 v17, s17, v12
	s_delay_alu instid0(VALU_DEP_2) | instskip(NEXT) | instid1(VALU_DEP_2)
	v_ashrrev_i32_e32 v16, 31, v15
	v_perm_b32 v17, v14, v17, 0x4020100
	s_delay_alu instid0(VALU_DEP_2) | instskip(NEXT) | instid1(VALU_DEP_2)
	v_lshlrev_b64 v[15:16], 2, v[15:16]
	v_add_nc_u32_e32 v19, 0xff000000, v17
	s_delay_alu instid0(VALU_DEP_2) | instskip(NEXT) | instid1(VALU_DEP_1)
	v_add_co_u32 v15, s3, s12, v15
	v_add_co_ci_u32_e64 v16, s3, s13, v16, s3
	global_load_b32 v18, v[15:16], off
	v_add_nc_u32_e32 v15, v13, v9
	s_delay_alu instid0(VALU_DEP_1) | instskip(NEXT) | instid1(VALU_DEP_1)
	v_ashrrev_i32_e32 v16, 31, v15
	v_lshlrev_b64 v[14:15], 2, v[15:16]
	s_delay_alu instid0(VALU_DEP_1) | instskip(NEXT) | instid1(VALU_DEP_1)
	v_add_co_u32 v16, s3, s10, v14
	v_add_co_ci_u32_e64 v17, s3, s11, v15, s3
	v_add_co_u32 v14, s3, s14, v14
	s_delay_alu instid0(VALU_DEP_1)
	v_add_co_ci_u32_e64 v15, s3, s15, v15, s3
	global_store_b32 v[16:17], v19, off
	s_waitcnt vmcnt(0)
	global_store_b32 v[14:15], v18, off
	s_branch .LBB19_58
.LBB19_61:
	s_and_saveexec_b32 s0, s1
	s_cbranch_execz .LBB19_67
; %bb.62:
	v_mov_b32_e32 v6, 0
	s_and_b32 s0, s33, 0xffffff
	s_lshl_b32 s1, s16, 24
	s_add_i32 s5, s5, 4
	s_or_b32 s1, s0, s1
	s_mov_b32 s2, 0
	s_set_inst_prefetch_distance 0x1
	s_branch .LBB19_64
	.p2align	6
.LBB19_63:                              ;   in Loop: Header=BB19_64 Depth=1
	s_or_b32 exec_lo, exec_lo, s3
	v_add_nc_u32_e32 v0, 0x100, v0
	s_delay_alu instid0(VALU_DEP_1) | instskip(SKIP_1) | instid1(SALU_CYCLE_1)
	v_cmp_le_i32_e32 vcc_lo, s20, v0
	s_or_b32 s2, vcc_lo, s2
	s_and_not1_b32 exec_lo, exec_lo, s2
	s_cbranch_execz .LBB19_67
.LBB19_64:                              ; =>This Loop Header: Depth=1
                                        ;     Child Loop BB19_66 Depth 2
	v_lshlrev_b32_e32 v1, 2, v0
	s_mov_b32 s3, exec_lo
	s_delay_alu instid0(VALU_DEP_1)
	v_add_nc_u32_e32 v2, 0, v1
	v_add_nc_u32_e32 v3, s5, v1
	ds_load_b32 v1, v2
	ds_load_b32 v7, v3
	s_waitcnt lgkmcnt(0)
	v_cmpx_lt_i32_e64 v1, v7
	s_cbranch_execz .LBB19_63
; %bb.65:                               ;   in Loop: Header=BB19_64 Depth=1
	v_ashrrev_i32_e32 v2, 31, v1
	s_mov_b32 s4, 0
	s_delay_alu instid0(VALU_DEP_1) | instskip(NEXT) | instid1(VALU_DEP_1)
	v_lshlrev_b64 v[4:5], 2, v[1:2]
	v_add_co_u32 v2, vcc_lo, s6, v4
	s_delay_alu instid0(VALU_DEP_2)
	v_add_co_ci_u32_e32 v3, vcc_lo, s7, v5, vcc_lo
	v_add_co_u32 v4, vcc_lo, s8, v4
	v_add_co_ci_u32_e32 v5, vcc_lo, s9, v5, vcc_lo
	.p2align	6
.LBB19_66:                              ;   Parent Loop BB19_64 Depth=1
                                        ; =>  This Inner Loop Header: Depth=2
	v_dual_mov_b32 v8, s1 :: v_dual_add_nc_u32 v1, 1, v1
	global_store_b32 v[4:5], v6, off
	v_add_co_u32 v4, vcc_lo, v4, 4
	v_add_co_ci_u32_e32 v5, vcc_lo, 0, v5, vcc_lo
	global_store_b32 v[2:3], v8, off
	v_cmp_ge_i32_e32 vcc_lo, v1, v7
	v_add_co_u32 v2, s0, v2, 4
	s_delay_alu instid0(VALU_DEP_1) | instskip(SKIP_1) | instid1(SALU_CYCLE_1)
	v_add_co_ci_u32_e64 v3, s0, 0, v3, s0
	s_or_b32 s4, vcc_lo, s4
	s_and_not1_b32 exec_lo, exec_lo, s4
	s_cbranch_execnz .LBB19_66
	s_branch .LBB19_63
.LBB19_67:
	s_set_inst_prefetch_distance 0x2
	s_nop 0
	s_sendmsg sendmsg(MSG_DEALLOC_VGPRS)
	s_endpgm
	.section	.rodata,"a",@progbits
	.p2align	6, 0x0
	.amdhsa_kernel _ZN5aiter22opus_moe_sorting_entryINS_16MoeSortingKernelINS_19MoeSortingProblemExIifLi2ELb1ELb0ELb1ELb1ELi0EEEEENS4_5KargsEEEvT0_
		.amdhsa_group_segment_fixed_size 0
		.amdhsa_private_segment_fixed_size 0
		.amdhsa_kernarg_size 400
		.amdhsa_user_sgpr_count 15
		.amdhsa_user_sgpr_dispatch_ptr 0
		.amdhsa_user_sgpr_queue_ptr 0
		.amdhsa_user_sgpr_kernarg_segment_ptr 1
		.amdhsa_user_sgpr_dispatch_id 0
		.amdhsa_user_sgpr_private_segment_size 0
		.amdhsa_wavefront_size32 1
		.amdhsa_uses_dynamic_stack 0
		.amdhsa_enable_private_segment 0
		.amdhsa_system_sgpr_workgroup_id_x 1
		.amdhsa_system_sgpr_workgroup_id_y 0
		.amdhsa_system_sgpr_workgroup_id_z 0
		.amdhsa_system_sgpr_workgroup_info 0
		.amdhsa_system_vgpr_workitem_id 0
		.amdhsa_next_free_vgpr 20
		.amdhsa_next_free_sgpr 38
		.amdhsa_reserve_vcc 1
		.amdhsa_float_round_mode_32 0
		.amdhsa_float_round_mode_16_64 0
		.amdhsa_float_denorm_mode_32 3
		.amdhsa_float_denorm_mode_16_64 3
		.amdhsa_dx10_clamp 1
		.amdhsa_ieee_mode 1
		.amdhsa_fp16_overflow 0
		.amdhsa_workgroup_processor_mode 1
		.amdhsa_memory_ordered 1
		.amdhsa_forward_progress 0
		.amdhsa_shared_vgpr_count 0
		.amdhsa_exception_fp_ieee_invalid_op 0
		.amdhsa_exception_fp_denorm_src 0
		.amdhsa_exception_fp_ieee_div_zero 0
		.amdhsa_exception_fp_ieee_overflow 0
		.amdhsa_exception_fp_ieee_underflow 0
		.amdhsa_exception_fp_ieee_inexact 0
		.amdhsa_exception_int_div_zero 0
	.end_amdhsa_kernel
	.section	.text._ZN5aiter22opus_moe_sorting_entryINS_16MoeSortingKernelINS_19MoeSortingProblemExIifLi2ELb1ELb0ELb1ELb1ELi0EEEEENS4_5KargsEEEvT0_,"axG",@progbits,_ZN5aiter22opus_moe_sorting_entryINS_16MoeSortingKernelINS_19MoeSortingProblemExIifLi2ELb1ELb0ELb1ELb1ELi0EEEEENS4_5KargsEEEvT0_,comdat
.Lfunc_end19:
	.size	_ZN5aiter22opus_moe_sorting_entryINS_16MoeSortingKernelINS_19MoeSortingProblemExIifLi2ELb1ELb0ELb1ELb1ELi0EEEEENS4_5KargsEEEvT0_, .Lfunc_end19-_ZN5aiter22opus_moe_sorting_entryINS_16MoeSortingKernelINS_19MoeSortingProblemExIifLi2ELb1ELb0ELb1ELb1ELi0EEEEENS4_5KargsEEEvT0_
                                        ; -- End function
	.section	.AMDGPU.csdata,"",@progbits
; Kernel info:
; codeLenInByte = 3104
; NumSgprs: 40
; NumVgprs: 20
; ScratchSize: 0
; MemoryBound: 0
; FloatMode: 240
; IeeeMode: 1
; LDSByteSize: 0 bytes/workgroup (compile time only)
; SGPRBlocks: 4
; VGPRBlocks: 2
; NumSGPRsForWavesPerEU: 40
; NumVGPRsForWavesPerEU: 20
; Occupancy: 16
; WaveLimiterHint : 1
; COMPUTE_PGM_RSRC2:SCRATCH_EN: 0
; COMPUTE_PGM_RSRC2:USER_SGPR: 15
; COMPUTE_PGM_RSRC2:TRAP_HANDLER: 0
; COMPUTE_PGM_RSRC2:TGID_X_EN: 1
; COMPUTE_PGM_RSRC2:TGID_Y_EN: 0
; COMPUTE_PGM_RSRC2:TGID_Z_EN: 0
; COMPUTE_PGM_RSRC2:TIDIG_COMP_CNT: 0
	.section	.text._ZN5aiter22opus_moe_sorting_entryINS_16MoeSortingKernelINS_19MoeSortingProblemExIifLi1ELb1ELb0ELb1ELb1ELi0EEEEENS4_5KargsEEEvT0_,"axG",@progbits,_ZN5aiter22opus_moe_sorting_entryINS_16MoeSortingKernelINS_19MoeSortingProblemExIifLi1ELb1ELb0ELb1ELb1ELi0EEEEENS4_5KargsEEEvT0_,comdat
	.protected	_ZN5aiter22opus_moe_sorting_entryINS_16MoeSortingKernelINS_19MoeSortingProblemExIifLi1ELb1ELb0ELb1ELb1ELi0EEEEENS4_5KargsEEEvT0_ ; -- Begin function _ZN5aiter22opus_moe_sorting_entryINS_16MoeSortingKernelINS_19MoeSortingProblemExIifLi1ELb1ELb0ELb1ELb1ELi0EEEEENS4_5KargsEEEvT0_
	.globl	_ZN5aiter22opus_moe_sorting_entryINS_16MoeSortingKernelINS_19MoeSortingProblemExIifLi1ELb1ELb0ELb1ELb1ELi0EEEEENS4_5KargsEEEvT0_
	.p2align	8
	.type	_ZN5aiter22opus_moe_sorting_entryINS_16MoeSortingKernelINS_19MoeSortingProblemExIifLi1ELb1ELb0ELb1ELb1ELi0EEEEENS4_5KargsEEEvT0_,@function
_ZN5aiter22opus_moe_sorting_entryINS_16MoeSortingKernelINS_19MoeSortingProblemExIifLi1ELb1ELb0ELb1ELb1ELi0EEEEENS4_5KargsEEEvT0_: ; @_ZN5aiter22opus_moe_sorting_entryINS_16MoeSortingKernelINS_19MoeSortingProblemExIifLi1ELb1ELb0ELb1ELb1ELi0EEEEENS4_5KargsEEEvT0_
; %bb.0:
	s_clause 0x3
	s_load_b256 s[4:11], s[0:1], 0x18
	s_load_b128 s[24:27], s[0:1], 0x38
	s_load_b64 s[34:35], s[0:1], 0x48
	s_load_b128 s[20:23], s[0:1], 0x54
	s_cmp_eq_u32 s15, 0
	s_waitcnt lgkmcnt(0)
	s_load_b32 s33, s[4:5], 0x0
	s_cbranch_scc1 .LBB20_7
; %bb.1:
	s_cmp_eq_u64 s[26:27], 0
	s_cbranch_scc1 .LBB20_6
; %bb.2:
	s_waitcnt lgkmcnt(0)
	s_ashr_i32 s2, s33, 31
	s_mul_i32 s3, s22, s21
	s_mul_hi_i32 s5, s22, s21
	s_mul_i32 s2, s3, s2
	s_mul_hi_u32 s4, s3, s33
	s_mul_i32 s5, s5, s33
	s_add_i32 s2, s4, s2
	s_mul_i32 s3, s3, s33
	s_add_i32 s4, s2, s5
	v_mov_b32_e32 v2, 0
	s_ashr_i32 s2, s4, 31
	s_mov_b32 s13, 0
	s_lshr_b32 s2, s2, 28
	s_delay_alu instid0(SALU_CYCLE_1) | instskip(SKIP_2) | instid1(SALU_CYCLE_1)
	s_add_u32 s2, s3, s2
	s_addc_u32 s3, s4, 0
	s_lshl_b32 s4, s15, 8
	v_add3_u32 v1, v0, s4, 0xffffff00
	s_ashr_i64 s[4:5], s[2:3], 4
	s_mov_b32 s3, exec_lo
	s_delay_alu instid0(VALU_DEP_1)
	v_cmpx_gt_i64_e64 s[4:5], v[1:2]
	s_cbranch_execz .LBB20_5
; %bb.3:
	s_load_b32 s2, s[0:1], 0x90
	v_lshlrev_b64 v[3:4], 4, v[1:2]
	v_dual_mov_b32 v6, v2 :: v_dual_mov_b32 v5, v1
	v_mov_b32_e32 v1, v2
	s_delay_alu instid0(VALU_DEP_3) | instskip(NEXT) | instid1(VALU_DEP_4)
	v_add_co_u32 v7, vcc_lo, s26, v3
	v_add_co_ci_u32_e32 v8, vcc_lo, s27, v4, vcc_lo
	v_mov_b32_e32 v3, v2
	v_mov_b32_e32 v4, v2
	s_waitcnt lgkmcnt(0)
	s_lshl_b32 s2, s2, 8
	s_delay_alu instid0(SALU_CYCLE_1) | instskip(NEXT) | instid1(SALU_CYCLE_1)
	s_add_i32 s12, s2, 0xffffff00
	s_lshl_b64 s[14:15], s[12:13], 4
.LBB20_4:                               ; =>This Inner Loop Header: Depth=1
	v_add_co_u32 v5, vcc_lo, v5, s12
	v_add_co_ci_u32_e32 v6, vcc_lo, 0, v6, vcc_lo
	global_store_b128 v[7:8], v[1:4], off
	v_add_co_u32 v7, s2, v7, s14
	v_cmp_le_i64_e32 vcc_lo, s[4:5], v[5:6]
	v_add_co_ci_u32_e64 v8, s2, s15, v8, s2
	s_or_b32 s13, vcc_lo, s13
	s_delay_alu instid0(SALU_CYCLE_1)
	s_and_not1_b32 exec_lo, exec_lo, s13
	s_cbranch_execnz .LBB20_4
.LBB20_5:
	s_or_b32 exec_lo, exec_lo, s3
.LBB20_6:
	s_cbranch_execz .LBB20_8
	s_branch .LBB20_67
.LBB20_7:
.LBB20_8:
	s_clause 0x1
	s_load_b256 s[12:19], s[0:1], 0x64
	s_load_b64 s[2:3], s[0:1], 0x84
	v_lshrrev_b32_e32 v1, 5, v0
	s_add_i32 s27, s20, 1
	s_mov_b32 s29, exec_lo
	s_delay_alu instid0(VALU_DEP_1) | instskip(SKIP_2) | instid1(SALU_CYCLE_1)
	v_readfirstlane_b32 s26, v1
	s_waitcnt lgkmcnt(0)
	s_add_i32 s21, s12, -2
	s_mul_i32 s28, s21, s20
	s_delay_alu instid0(SALU_CYCLE_1)
	v_cmpx_gt_i32_e64 s28, v0
	s_cbranch_execz .LBB20_11
; %bb.9:
	v_dual_mov_b32 v4, 0 :: v_dual_lshlrev_b32 v3, 2, v0
	s_lshl_b32 s4, s20, 3
	v_mad_u64_u32 v[1:2], null, v0, s2, 0
	s_add_i32 s4, s4, 0
	v_mov_b32_e32 v5, v0
	v_add3_u32 v3, s4, v3, 8
	s_mov_b32 s5, 0
	s_sub_i32 s19, s27, s19
	s_mov_b32 s4, s2
	s_lshl_b32 s19, s19, 2
	s_lshl_b64 s[22:23], s[4:5], 8
	.p2align	6
.LBB20_10:                              ; =>This Inner Loop Header: Depth=1
	v_add_nc_u32_e32 v6, v5, v2
	v_add_nc_u32_e32 v5, 0x100, v5
	v_add_co_u32 v1, vcc_lo, v1, s22
	v_add_co_ci_u32_e32 v2, vcc_lo, s23, v2, vcc_lo
	s_delay_alu instid0(VALU_DEP_4) | instskip(NEXT) | instid1(VALU_DEP_4)
	v_lshrrev_b32_e32 v8, s3, v6
	v_cmp_le_i32_e64 s2, s28, v5
	s_delay_alu instid0(VALU_DEP_2) | instskip(SKIP_1) | instid1(VALU_DEP_3)
	v_mad_u64_u32 v[6:7], null, s19, v8, v[3:4]
	v_add_nc_u32_e32 v3, 0x400, v3
	s_or_b32 s5, s2, s5
	ds_store_b32 v6, v4
	s_and_not1_b32 exec_lo, exec_lo, s5
	s_cbranch_execnz .LBB20_10
.LBB20_11:
	s_or_b32 exec_lo, exec_lo, s29
	s_load_b128 s[28:31], s[0:1], 0x0
	s_cmp_gt_i32 s33, 0
	s_mov_b32 s3, 0
	s_cselect_b32 s22, -1, 0
	s_cmp_lt_i32 s33, 1
	s_mul_i32 s19, s16, s21
	s_waitcnt lgkmcnt(0)
	s_waitcnt_vscnt null, 0x0
	s_barrier
	buffer_gl0_inv
	s_cbranch_scc1 .LBB20_19
; %bb.12:
	v_mad_u64_u32 v[1:2], null, v0, s17, 0
	v_cmp_gt_i32_e32 vcc_lo, s19, v0
	v_mov_b32_e32 v4, 0
	s_lshl_b32 s0, s27, 3
	s_mov_b32 s2, s17
	s_add_i32 s23, s0, 0
	s_sub_i32 s17, 0, s16
	s_lshl_b64 s[4:5], s[2:3], 8
	s_mov_b32 s2, 0
	s_branch .LBB20_14
.LBB20_13:                              ;   in Loop: Header=BB20_14 Depth=1
	s_set_inst_prefetch_distance 0x2
	s_or_b32 exec_lo, exec_lo, s36
	s_add_i32 s2, s2, s21
	s_add_i32 s3, s3, s19
	s_cmp_ge_i32 s2, s33
	s_waitcnt lgkmcnt(0)
	s_barrier
	buffer_gl0_inv
	s_cbranch_scc1 .LBB20_19
.LBB20_14:                              ; =>This Loop Header: Depth=1
                                        ;     Child Loop BB20_17 Depth 2
	s_and_saveexec_b32 s36, vcc_lo
	s_cbranch_execz .LBB20_13
; %bb.15:                               ;   in Loop: Header=BB20_14 Depth=1
	v_dual_mov_b32 v6, v2 :: v_dual_mov_b32 v5, v1
	v_mov_b32_e32 v7, v0
	s_mov_b32 s37, 0
	s_set_inst_prefetch_distance 0x1
	s_branch .LBB20_17
	.p2align	6
.LBB20_16:                              ;   in Loop: Header=BB20_17 Depth=2
	s_or_b32 exec_lo, exec_lo, s1
	v_add_nc_u32_e32 v7, 0x100, v7
	v_add_co_u32 v5, s1, v5, s4
	s_delay_alu instid0(VALU_DEP_1) | instskip(NEXT) | instid1(VALU_DEP_3)
	v_add_co_ci_u32_e64 v6, s1, s5, v6, s1
	v_cmp_le_i32_e64 s0, s19, v7
	s_waitcnt vmcnt(48) lgkmcnt(7)
	s_delay_alu instid0(VALU_DEP_1) | instskip(NEXT) | instid1(SALU_CYCLE_1)
	s_or_b32 s37, s0, s37
	s_and_not1_b32 exec_lo, exec_lo, s37
	s_cbranch_execz .LBB20_13
.LBB20_17:                              ;   Parent Loop BB20_14 Depth=1
                                        ; =>  This Inner Loop Header: Depth=2
	s_delay_alu instid0(VALU_DEP_1) | instskip(SKIP_1) | instid1(VALU_DEP_1)
	v_add_nc_u32_e32 v3, v7, v6
	s_mov_b32 s1, exec_lo
	v_lshrrev_b32_e32 v8, s18, v3
	s_delay_alu instid0(VALU_DEP_1) | instskip(NEXT) | instid1(VALU_DEP_1)
	v_add_nc_u32_e32 v3, s2, v8
	v_cmpx_gt_i32_e64 s33, v3
	s_cbranch_execz .LBB20_16
; %bb.18:                               ;   in Loop: Header=BB20_17 Depth=2
	v_add_nc_u32_e32 v3, s3, v7
	s_delay_alu instid0(VALU_DEP_1) | instskip(NEXT) | instid1(VALU_DEP_1)
	v_lshlrev_b64 v[9:10], 2, v[3:4]
	v_add_co_u32 v9, s0, s28, v9
	s_delay_alu instid0(VALU_DEP_1) | instskip(SKIP_3) | instid1(VALU_DEP_2)
	v_add_co_ci_u32_e64 v10, s0, s29, v10, s0
	global_load_b32 v3, v[9:10], off
	v_mul_lo_u32 v9, v8, s27
	v_mul_lo_u32 v8, s17, v8
	v_lshlrev_b32_e32 v9, 2, v9
	s_delay_alu instid0(VALU_DEP_2) | instskip(SKIP_2) | instid1(VALU_DEP_1)
	v_add3_u32 v8, v7, v8, 1
	s_waitcnt vmcnt(0)
	v_lshlrev_b32_e32 v3, 2, v3
	v_add3_u32 v3, s23, v3, v9
	ds_store_b32 v3, v8
	s_branch .LBB20_16
.LBB20_19:
	s_mov_b32 s0, exec_lo
	v_cmpx_eq_u32_e32 0, v0
	s_cbranch_execz .LBB20_21
; %bb.20:
	v_mov_b32_e32 v1, 0
	ds_store_b32 v1, v1
.LBB20_21:
	s_or_b32 exec_lo, exec_lo, s0
	v_and_b32_e32 v5, 7, v0
	v_lshrrev_b32_e32 v6, 3, v0
	v_mbcnt_lo_u32_b32 v9, -1, 0
	s_mov_b32 s4, 0
	s_delay_alu instid0(VALU_DEP_3) | instskip(NEXT) | instid1(VALU_DEP_3)
	v_mul_lo_u32 v1, s27, v5
	v_cmp_gt_i32_e64 s0, s20, v6
	v_lshlrev_b32_e32 v8, 2, v6
	s_delay_alu instid0(VALU_DEP_3) | instskip(NEXT) | instid1(VALU_DEP_3)
	v_lshlrev_b32_e32 v7, 2, v1
	s_and_saveexec_b32 s3, s0
	s_cbranch_execz .LBB20_29
; %bb.22:
	s_cmp_gt_i32 s12, 2
	v_dual_mov_b32 v10, v6 :: v_dual_lshlrev_b32 v3, 2, v9
	s_cselect_b32 s5, -1, 0
	s_lshl_b32 s1, s20, 3
	s_lshl_b32 s12, s20, 5
	v_add3_u32 v4, v7, s1, v8
	v_cmp_eq_u32_e64 s1, 0, v5
	v_xor_b32_e32 v1, 4, v3
	v_xor_b32_e32 v2, 8, v3
	;; [unrolled: 1-line block ×3, first 2 shown]
	v_add3_u32 v4, v4, 0, 8
	s_add_i32 s12, s12, 32
	s_set_inst_prefetch_distance 0x1
	s_branch .LBB20_24
	.p2align	6
.LBB20_23:                              ;   in Loop: Header=BB20_24 Depth=1
	s_or_b32 exec_lo, exec_lo, s2
	v_add_nc_u32_e32 v10, 32, v10
	v_add_nc_u32_e32 v4, 0x80, v4
	s_delay_alu instid0(VALU_DEP_2) | instskip(SKIP_1) | instid1(SALU_CYCLE_1)
	v_cmp_le_i32_e32 vcc_lo, s20, v10
	s_or_b32 s4, vcc_lo, s4
	s_and_not1_b32 exec_lo, exec_lo, s4
	s_cbranch_execz .LBB20_29
.LBB20_24:                              ; =>This Loop Header: Depth=1
                                        ;     Child Loop BB20_26 Depth 2
	v_mov_b32_e32 v11, 0
	s_and_not1_b32 vcc_lo, exec_lo, s5
	s_cbranch_vccnz .LBB20_27
; %bb.25:                               ;   in Loop: Header=BB20_24 Depth=1
	v_dual_mov_b32 v11, 0 :: v_dual_mov_b32 v12, v4
	s_mov_b32 s17, 0
	.p2align	6
.LBB20_26:                              ;   Parent Loop BB20_24 Depth=1
                                        ; =>  This Inner Loop Header: Depth=2
	ds_load_b32 v13, v12
	v_add_nc_u32_e32 v12, s12, v12
	s_add_i32 s17, s17, 8
	s_delay_alu instid0(SALU_CYCLE_1)
	s_cmp_ge_i32 s17, s21
	s_waitcnt lgkmcnt(0)
	v_cmp_ne_u32_e32 vcc_lo, 0, v13
	v_cndmask_b32_e64 v13, 0, 1, vcc_lo
	ds_bpermute_b32 v13, v1, v13
	s_waitcnt lgkmcnt(0)
	v_add_co_ci_u32_e64 v14, s2, 0, v13, vcc_lo
	ds_bpermute_b32 v14, v2, v14
	s_waitcnt lgkmcnt(0)
	v_add_co_ci_u32_e32 v13, vcc_lo, v14, v13, vcc_lo
	ds_bpermute_b32 v14, v3, v13
	s_waitcnt lgkmcnt(0)
	v_add3_u32 v11, v14, v11, v13
	s_cbranch_scc0 .LBB20_26
.LBB20_27:                              ;   in Loop: Header=BB20_24 Depth=1
	s_and_saveexec_b32 s2, s1
	s_cbranch_execz .LBB20_23
; %bb.28:                               ;   in Loop: Header=BB20_24 Depth=1
	v_lshl_add_u32 v12, v10, 2, 0
	ds_store_b32 v12, v11 offset:4
	s_branch .LBB20_23
.LBB20_29:
	s_set_inst_prefetch_distance 0x2
	s_or_b32 exec_lo, exec_lo, s3
	s_cmp_lg_u32 s26, 0
	s_mov_b32 s3, 0
	s_waitcnt lgkmcnt(0)
	s_barrier
	buffer_gl0_inv
	s_cbranch_scc1 .LBB20_38
; %bb.30:
	v_mov_b32_e32 v1, 0
	s_cmp_lt_i32 s20, 1
	s_cbranch_scc1 .LBB20_35
; %bb.31:
	v_lshlrev_b32_e32 v1, 2, v9
	v_cmp_eq_u32_e32 vcc_lo, 0, v9
	v_cmp_lt_u32_e64 s1, 15, v9
	s_add_i32 s4, s13, -1
	s_delay_alu instid0(VALU_DEP_3) | instskip(SKIP_1) | instid1(VALU_DEP_2)
	v_and_b32_e32 v2, 64, v1
	v_add3_u32 v3, v1, 0, 4
	v_add_nc_u32_e32 v2, -4, v2
	s_set_inst_prefetch_distance 0x1
	s_branch .LBB20_33
	.p2align	6
.LBB20_32:                              ;   in Loop: Header=BB20_33 Depth=1
	s_or_b32 exec_lo, exec_lo, s5
	v_add_nc_u32_e32 v3, 0x80, v3
	s_add_i32 s3, s3, 32
	s_waitcnt vmcnt(48) lgkmcnt(7)
	s_cmp_lt_i32 s3, s20
	s_cbranch_scc0 .LBB20_35
.LBB20_33:                              ; =>This Inner Loop Header: Depth=1
	ds_load_b32 v1, v3
	v_cndmask_b32_e64 v4, 0, s3, vcc_lo
	s_mov_b32 s5, exec_lo
	s_delay_alu instid0(VALU_DEP_1) | instskip(SKIP_4) | instid1(VALU_DEP_1)
	v_lshl_add_u32 v4, v4, 2, 0
	s_waitcnt lgkmcnt(0)
	v_add_nc_u32_e32 v10, s4, v1
	ds_load_b32 v1, v4
	v_mul_hi_u32 v4, v10, s14
	v_add_nc_u32_e32 v4, v10, v4
	s_delay_alu instid0(VALU_DEP_1) | instskip(SKIP_1) | instid1(VALU_DEP_1)
	v_lshrrev_b32_e32 v4, s15, v4
	s_waitcnt lgkmcnt(0)
	v_mad_u64_u32 v[10:11], null, v4, s13, v[1:2]
	s_delay_alu instid0(VALU_DEP_1) | instskip(SKIP_1) | instid1(VALU_DEP_2)
	v_add_nc_u32_dpp v1, v10, v10 row_shr:1 row_mask:0xf bank_mask:0xf bound_ctrl:1
	v_add_nc_u32_e32 v10, s3, v9
	v_add_nc_u32_dpp v1, v1, v1 row_shr:2 row_mask:0xf bank_mask:0xf bound_ctrl:1
	s_delay_alu instid0(VALU_DEP_1) | instskip(NEXT) | instid1(VALU_DEP_1)
	v_add_nc_u32_dpp v1, v1, v1 row_shr:4 row_mask:0xf bank_mask:0xf bound_ctrl:1
	v_add_nc_u32_dpp v1, v1, v1 row_shr:8 row_mask:0xf bank_mask:0xf bound_ctrl:1
	ds_bpermute_b32 v4, v2, v1
	s_waitcnt lgkmcnt(0)
	v_cndmask_b32_e64 v4, 0, v4, s1
	s_delay_alu instid0(VALU_DEP_1)
	v_add_nc_u32_e32 v1, v1, v4
	v_cmpx_gt_i32_e64 s20, v10
	s_cbranch_execz .LBB20_32
; %bb.34:                               ;   in Loop: Header=BB20_33 Depth=1
	ds_store_b32 v3, v1
	s_branch .LBB20_32
.LBB20_35:
	s_set_inst_prefetch_distance 0x2
	v_add3_u32 v2, v9, s3, 0xffffffe1
	s_mov_b32 s1, exec_lo
	s_delay_alu instid0(VALU_DEP_1)
	v_cmpx_eq_u32_e64 s20, v2
	s_cbranch_execz .LBB20_37
; %bb.36:
	v_dual_mov_b32 v3, 0 :: v_dual_mov_b32 v2, s33
	global_store_b64 v3, v[1:2], s[24:25]
.LBB20_37:
	s_or_b32 exec_lo, exec_lo, s1
.LBB20_38:
	s_cmp_eq_u64 s[34:35], 0
	s_waitcnt lgkmcnt(0)
	s_waitcnt_vscnt null, 0x0
	s_barrier
	buffer_gl0_inv
	s_cbranch_scc1 .LBB20_43
; %bb.39:
	s_mul_i32 s2, s33, s16
	s_mov_b32 s3, exec_lo
	v_cmpx_gt_i32_e64 s2, v0
	s_cbranch_execz .LBB20_42
; %bb.40:
	v_dual_mov_b32 v10, v0 :: v_dual_lshlrev_b32 v3, 2, v0
	s_mov_b32 s4, 0
	s_delay_alu instid0(VALU_DEP_1) | instskip(NEXT) | instid1(VALU_DEP_1)
	v_add_co_u32 v1, s1, s28, v3
	v_add_co_ci_u32_e64 v2, null, s29, 0, s1
	v_add_co_u32 v3, s1, s34, v3
	s_delay_alu instid0(VALU_DEP_1)
	v_add_co_ci_u32_e64 v4, null, s35, 0, s1
	.p2align	6
.LBB20_41:                              ; =>This Inner Loop Header: Depth=1
	global_load_b32 v11, v[1:2], off
	v_add_nc_u32_e32 v10, 0x100, v10
	v_add_co_u32 v1, vcc_lo, 0x400, v1
	v_add_co_ci_u32_e32 v2, vcc_lo, 0, v2, vcc_lo
	s_delay_alu instid0(VALU_DEP_3) | instskip(SKIP_4) | instid1(VALU_DEP_1)
	v_cmp_le_i32_e32 vcc_lo, s2, v10
	s_or_b32 s4, vcc_lo, s4
	s_waitcnt vmcnt(0)
	global_store_b32 v[3:4], v11, off
	v_add_co_u32 v3, s1, 0x400, v3
	v_add_co_ci_u32_e64 v4, s1, 0, v4, s1
	s_and_not1_b32 exec_lo, exec_lo, s4
	s_cbranch_execnz .LBB20_41
.LBB20_42:
	s_or_b32 exec_lo, exec_lo, s3
	s_waitcnt_vscnt null, 0x0
	s_barrier
	buffer_gl0_inv
.LBB20_43:
	s_lshl_b32 s3, s20, 2
	v_cmp_gt_i32_e64 s1, s20, v0
	s_add_i32 s4, s3, 0
	s_mov_b32 s12, 0
	s_add_i32 s5, s4, 4
	s_delay_alu instid0(VALU_DEP_1)
	s_and_saveexec_b32 s17, s1
	s_cbranch_execz .LBB20_49
; %bb.44:
	v_mov_b32_e32 v2, 0
	v_mov_b32_e32 v10, v0
	s_set_inst_prefetch_distance 0x1
	s_branch .LBB20_46
	.p2align	6
.LBB20_45:                              ;   in Loop: Header=BB20_46 Depth=1
	s_or_b32 exec_lo, exec_lo, s18
	v_add_nc_u32_e32 v10, 0x100, v10
	s_delay_alu instid0(VALU_DEP_1) | instskip(SKIP_1) | instid1(SALU_CYCLE_1)
	v_cmp_le_i32_e32 vcc_lo, s20, v10
	s_or_b32 s12, vcc_lo, s12
	s_and_not1_b32 exec_lo, exec_lo, s12
	s_cbranch_execz .LBB20_49
.LBB20_46:                              ; =>This Loop Header: Depth=1
                                        ;     Child Loop BB20_48 Depth 2
	s_delay_alu instid0(VALU_DEP_1) | instskip(SKIP_1) | instid1(VALU_DEP_1)
	v_lshlrev_b32_e32 v1, 2, v10
	s_mov_b32 s18, exec_lo
	v_add_nc_u32_e32 v3, 0, v1
	v_add_nc_u32_e32 v1, s5, v1
	ds_load_2addr_b32 v[3:4], v3 offset1:1
	s_waitcnt lgkmcnt(0)
	ds_store_b32 v1, v3
	v_cmpx_lt_i32_e64 v3, v4
	s_cbranch_execz .LBB20_45
; %bb.47:                               ;   in Loop: Header=BB20_46 Depth=1
	s_mov_b32 s23, 0
	.p2align	6
.LBB20_48:                              ;   Parent Loop BB20_46 Depth=1
                                        ; =>  This Inner Loop Header: Depth=2
	v_mul_hi_u32 v1, s14, v3
	s_delay_alu instid0(VALU_DEP_1) | instskip(SKIP_1) | instid1(VALU_DEP_2)
	v_add_nc_u32_e32 v1, v3, v1
	v_add_nc_u32_e32 v3, s13, v3
	v_lshrrev_b32_e32 v1, s15, v1
	s_delay_alu instid0(VALU_DEP_2) | instskip(NEXT) | instid1(VALU_DEP_2)
	v_cmp_ge_i32_e32 vcc_lo, v3, v4
	v_lshlrev_b64 v[11:12], 2, v[1:2]
	s_or_b32 s23, vcc_lo, s23
	s_delay_alu instid0(VALU_DEP_1) | instskip(NEXT) | instid1(VALU_DEP_1)
	v_add_co_u32 v11, s2, s10, v11
	v_add_co_ci_u32_e64 v12, s2, s11, v12, s2
	global_store_b32 v[11:12], v10, off
	s_and_not1_b32 exec_lo, exec_lo, s23
	s_cbranch_execnz .LBB20_48
	s_branch .LBB20_45
.LBB20_49:
	s_set_inst_prefetch_distance 0x2
	s_or_b32 exec_lo, exec_lo, s17
	s_add_i32 s2, s4, s3
	s_delay_alu instid0(SALU_CYCLE_1)
	v_dual_mov_b32 v1, s4 :: v_dual_mov_b32 v2, s2
	s_waitcnt lgkmcnt(0)
	s_waitcnt_vscnt null, 0x0
	s_barrier
	buffer_gl0_inv
	ds_load_b32 v1, v1
	s_and_not1_b32 vcc_lo, exec_lo, s22
	s_waitcnt lgkmcnt(0)
	ds_store_b32 v2, v1 offset:4
	s_cbranch_vccnz .LBB20_61
; %bb.50:
	s_add_u32 s10, s6, -4
	s_addc_u32 s11, s7, -1
	s_add_u32 s12, s30, -4
	s_addc_u32 s13, s31, -1
	;; [unrolled: 2-line block ×3, first 2 shown]
	s_lshl_b32 s2, s20, 3
	v_and_b32_e32 v2, 8, v9
	v_add3_u32 v3, v7, s2, v8
	v_mul_lo_u32 v1, s16, v5
	v_cmp_gt_i32_e32 vcc_lo, s21, v5
	s_lshl_b32 s22, s20, 5
	v_cmp_eq_u32_e64 s2, 0, v2
	v_lshl_or_b32 v2, v0, 2, 28
	v_add3_u32 v3, v3, 0, 8
	s_mov_b32 s17, 0
	s_lshl_b32 s18, s16, 3
	s_add_i32 s22, s22, 32
	s_branch .LBB20_52
.LBB20_51:                              ;   in Loop: Header=BB20_52 Depth=1
	s_or_b32 exec_lo, exec_lo, s23
	v_add_nc_u32_e32 v1, s19, v1
	s_add_i32 s17, s17, s21
	s_waitcnt lgkmcnt(0)
	s_waitcnt_vscnt null, 0x0
	s_cmp_ge_i32 s17, s33
	s_barrier
	buffer_gl0_inv
	s_cbranch_scc1 .LBB20_61
.LBB20_52:                              ; =>This Loop Header: Depth=1
                                        ;     Child Loop BB20_56 Depth 2
                                        ;       Child Loop BB20_59 Depth 3
	s_and_saveexec_b32 s23, s0
	s_cbranch_execz .LBB20_51
; %bb.53:                               ;   in Loop: Header=BB20_52 Depth=1
	v_dual_mov_b32 v4, v3 :: v_dual_mov_b32 v7, v6
	s_mov_b32 s24, 0
	s_branch .LBB20_56
.LBB20_54:                              ;   in Loop: Header=BB20_56 Depth=2
	s_or_b32 exec_lo, exec_lo, s26
.LBB20_55:                              ;   in Loop: Header=BB20_56 Depth=2
	s_delay_alu instid0(SALU_CYCLE_1)
	s_or_b32 exec_lo, exec_lo, s25
	v_add_nc_u32_e32 v7, 32, v7
	v_add_nc_u32_e32 v4, 0x80, v4
	s_waitcnt lgkmcnt(0)
	ds_store_b32 v8, v9
	v_cmp_le_i32_e64 s3, s20, v7
	s_delay_alu instid0(VALU_DEP_1) | instskip(NEXT) | instid1(SALU_CYCLE_1)
	s_or_b32 s24, s3, s24
	s_and_not1_b32 exec_lo, exec_lo, s24
	s_cbranch_execz .LBB20_51
.LBB20_56:                              ;   Parent Loop BB20_52 Depth=1
                                        ; =>  This Loop Header: Depth=2
                                        ;       Child Loop BB20_59 Depth 3
	s_delay_alu instid0(VALU_DEP_1)
	v_lshl_add_u32 v8, v7, 2, 0
	ds_load_b32 v9, v8
	s_and_saveexec_b32 s25, vcc_lo
	s_cbranch_execz .LBB20_55
; %bb.57:                               ;   in Loop: Header=BB20_56 Depth=2
	v_dual_mov_b32 v10, v4 :: v_dual_mov_b32 v11, v1
	v_mov_b32_e32 v12, v5
	s_mov_b32 s26, 0
	s_branch .LBB20_59
.LBB20_58:                              ;   in Loop: Header=BB20_59 Depth=3
	s_or_b32 exec_lo, exec_lo, s4
	ds_bpermute_b32 v13, v2, v13
	v_add_nc_u32_e32 v12, 8, v12
	v_add_nc_u32_e32 v11, s18, v11
	;; [unrolled: 1-line block ×3, first 2 shown]
	s_delay_alu instid0(VALU_DEP_3) | instskip(NEXT) | instid1(VALU_DEP_1)
	v_cmp_le_i32_e64 s3, s21, v12
	s_or_b32 s26, s3, s26
	s_waitcnt lgkmcnt(0)
	v_add_nc_u32_e32 v9, v13, v9
	s_and_not1_b32 exec_lo, exec_lo, s26
	s_cbranch_execz .LBB20_54
.LBB20_59:                              ;   Parent Loop BB20_52 Depth=1
                                        ;     Parent Loop BB20_56 Depth=2
                                        ; =>    This Inner Loop Header: Depth=3
	ds_load_b32 v14, v10
	s_waitcnt lgkmcnt(0)
	v_cmp_ne_u32_e64 s3, 0, v14
	s_delay_alu instid0(VALU_DEP_1) | instskip(NEXT) | instid1(VALU_DEP_1)
	v_cndmask_b32_e64 v13, 0, 1, s3
	v_mov_b32_dpp v13, v13 row_shr:1 row_mask:0xf bank_mask:0xf bound_ctrl:1
	s_delay_alu instid0(VALU_DEP_1) | instskip(NEXT) | instid1(VALU_DEP_1)
	v_add_co_ci_u32_e64 v15, s4, 0, v13, s3
	v_mov_b32_dpp v15, v15 row_shr:2 row_mask:0xf bank_mask:0xf bound_ctrl:1
	s_delay_alu instid0(VALU_DEP_1) | instskip(NEXT) | instid1(VALU_DEP_1)
	v_add_co_ci_u32_e64 v13, s4, v15, v13, s3
	v_add_nc_u32_dpp v13, v13, v13 row_shr:4 row_mask:0xf bank_mask:0xf bound_ctrl:1
	s_delay_alu instid0(VALU_DEP_1) | instskip(NEXT) | instid1(VALU_DEP_1)
	v_add_nc_u32_dpp v13, v13, v13 row_shr:8 row_mask:0xf bank_mask:0xf bound_ctrl:1
	v_mov_b32_dpp v15, v13 row_share:7 row_mask:0xf bank_mask:0xf bound_ctrl:1
	s_delay_alu instid0(VALU_DEP_1) | instskip(NEXT) | instid1(VALU_DEP_1)
	v_cndmask_b32_e64 v15, v15, 0, s2
	v_sub_nc_u32_e32 v13, v13, v15
	s_and_saveexec_b32 s4, s3
	s_cbranch_execz .LBB20_58
; %bb.60:                               ;   in Loop: Header=BB20_59 Depth=3
	v_add_nc_u32_e32 v15, v11, v14
	v_add_nc_u32_e32 v17, s17, v12
	s_delay_alu instid0(VALU_DEP_2) | instskip(NEXT) | instid1(VALU_DEP_2)
	v_ashrrev_i32_e32 v16, 31, v15
	v_perm_b32 v17, v14, v17, 0x4020100
	s_delay_alu instid0(VALU_DEP_2) | instskip(NEXT) | instid1(VALU_DEP_2)
	v_lshlrev_b64 v[15:16], 2, v[15:16]
	v_add_nc_u32_e32 v19, 0xff000000, v17
	s_delay_alu instid0(VALU_DEP_2) | instskip(NEXT) | instid1(VALU_DEP_1)
	v_add_co_u32 v15, s3, s12, v15
	v_add_co_ci_u32_e64 v16, s3, s13, v16, s3
	global_load_b32 v18, v[15:16], off
	v_add_nc_u32_e32 v15, v13, v9
	s_delay_alu instid0(VALU_DEP_1) | instskip(NEXT) | instid1(VALU_DEP_1)
	v_ashrrev_i32_e32 v16, 31, v15
	v_lshlrev_b64 v[14:15], 2, v[15:16]
	s_delay_alu instid0(VALU_DEP_1) | instskip(NEXT) | instid1(VALU_DEP_1)
	v_add_co_u32 v16, s3, s10, v14
	v_add_co_ci_u32_e64 v17, s3, s11, v15, s3
	v_add_co_u32 v14, s3, s14, v14
	s_delay_alu instid0(VALU_DEP_1)
	v_add_co_ci_u32_e64 v15, s3, s15, v15, s3
	global_store_b32 v[16:17], v19, off
	s_waitcnt vmcnt(0)
	global_store_b32 v[14:15], v18, off
	s_branch .LBB20_58
.LBB20_61:
	s_and_saveexec_b32 s0, s1
	s_cbranch_execz .LBB20_67
; %bb.62:
	v_mov_b32_e32 v6, 0
	s_and_b32 s0, s33, 0xffffff
	s_lshl_b32 s1, s16, 24
	s_add_i32 s5, s5, 4
	s_or_b32 s1, s0, s1
	s_mov_b32 s2, 0
	s_set_inst_prefetch_distance 0x1
	s_branch .LBB20_64
	.p2align	6
.LBB20_63:                              ;   in Loop: Header=BB20_64 Depth=1
	s_or_b32 exec_lo, exec_lo, s3
	v_add_nc_u32_e32 v0, 0x100, v0
	s_delay_alu instid0(VALU_DEP_1) | instskip(SKIP_1) | instid1(SALU_CYCLE_1)
	v_cmp_le_i32_e32 vcc_lo, s20, v0
	s_or_b32 s2, vcc_lo, s2
	s_and_not1_b32 exec_lo, exec_lo, s2
	s_cbranch_execz .LBB20_67
.LBB20_64:                              ; =>This Loop Header: Depth=1
                                        ;     Child Loop BB20_66 Depth 2
	v_lshlrev_b32_e32 v1, 2, v0
	s_mov_b32 s3, exec_lo
	s_delay_alu instid0(VALU_DEP_1)
	v_add_nc_u32_e32 v2, 0, v1
	v_add_nc_u32_e32 v3, s5, v1
	ds_load_b32 v1, v2
	ds_load_b32 v7, v3
	s_waitcnt lgkmcnt(0)
	v_cmpx_lt_i32_e64 v1, v7
	s_cbranch_execz .LBB20_63
; %bb.65:                               ;   in Loop: Header=BB20_64 Depth=1
	v_ashrrev_i32_e32 v2, 31, v1
	s_mov_b32 s4, 0
	s_delay_alu instid0(VALU_DEP_1) | instskip(NEXT) | instid1(VALU_DEP_1)
	v_lshlrev_b64 v[4:5], 2, v[1:2]
	v_add_co_u32 v2, vcc_lo, s6, v4
	s_delay_alu instid0(VALU_DEP_2)
	v_add_co_ci_u32_e32 v3, vcc_lo, s7, v5, vcc_lo
	v_add_co_u32 v4, vcc_lo, s8, v4
	v_add_co_ci_u32_e32 v5, vcc_lo, s9, v5, vcc_lo
	.p2align	6
.LBB20_66:                              ;   Parent Loop BB20_64 Depth=1
                                        ; =>  This Inner Loop Header: Depth=2
	v_dual_mov_b32 v8, s1 :: v_dual_add_nc_u32 v1, 1, v1
	global_store_b32 v[4:5], v6, off
	v_add_co_u32 v4, vcc_lo, v4, 4
	v_add_co_ci_u32_e32 v5, vcc_lo, 0, v5, vcc_lo
	global_store_b32 v[2:3], v8, off
	v_cmp_ge_i32_e32 vcc_lo, v1, v7
	v_add_co_u32 v2, s0, v2, 4
	s_delay_alu instid0(VALU_DEP_1) | instskip(SKIP_1) | instid1(SALU_CYCLE_1)
	v_add_co_ci_u32_e64 v3, s0, 0, v3, s0
	s_or_b32 s4, vcc_lo, s4
	s_and_not1_b32 exec_lo, exec_lo, s4
	s_cbranch_execnz .LBB20_66
	s_branch .LBB20_63
.LBB20_67:
	s_set_inst_prefetch_distance 0x2
	s_nop 0
	s_sendmsg sendmsg(MSG_DEALLOC_VGPRS)
	s_endpgm
	.section	.rodata,"a",@progbits
	.p2align	6, 0x0
	.amdhsa_kernel _ZN5aiter22opus_moe_sorting_entryINS_16MoeSortingKernelINS_19MoeSortingProblemExIifLi1ELb1ELb0ELb1ELb1ELi0EEEEENS4_5KargsEEEvT0_
		.amdhsa_group_segment_fixed_size 0
		.amdhsa_private_segment_fixed_size 0
		.amdhsa_kernarg_size 400
		.amdhsa_user_sgpr_count 15
		.amdhsa_user_sgpr_dispatch_ptr 0
		.amdhsa_user_sgpr_queue_ptr 0
		.amdhsa_user_sgpr_kernarg_segment_ptr 1
		.amdhsa_user_sgpr_dispatch_id 0
		.amdhsa_user_sgpr_private_segment_size 0
		.amdhsa_wavefront_size32 1
		.amdhsa_uses_dynamic_stack 0
		.amdhsa_enable_private_segment 0
		.amdhsa_system_sgpr_workgroup_id_x 1
		.amdhsa_system_sgpr_workgroup_id_y 0
		.amdhsa_system_sgpr_workgroup_id_z 0
		.amdhsa_system_sgpr_workgroup_info 0
		.amdhsa_system_vgpr_workitem_id 0
		.amdhsa_next_free_vgpr 20
		.amdhsa_next_free_sgpr 38
		.amdhsa_reserve_vcc 1
		.amdhsa_float_round_mode_32 0
		.amdhsa_float_round_mode_16_64 0
		.amdhsa_float_denorm_mode_32 3
		.amdhsa_float_denorm_mode_16_64 3
		.amdhsa_dx10_clamp 1
		.amdhsa_ieee_mode 1
		.amdhsa_fp16_overflow 0
		.amdhsa_workgroup_processor_mode 1
		.amdhsa_memory_ordered 1
		.amdhsa_forward_progress 0
		.amdhsa_shared_vgpr_count 0
		.amdhsa_exception_fp_ieee_invalid_op 0
		.amdhsa_exception_fp_denorm_src 0
		.amdhsa_exception_fp_ieee_div_zero 0
		.amdhsa_exception_fp_ieee_overflow 0
		.amdhsa_exception_fp_ieee_underflow 0
		.amdhsa_exception_fp_ieee_inexact 0
		.amdhsa_exception_int_div_zero 0
	.end_amdhsa_kernel
	.section	.text._ZN5aiter22opus_moe_sorting_entryINS_16MoeSortingKernelINS_19MoeSortingProblemExIifLi1ELb1ELb0ELb1ELb1ELi0EEEEENS4_5KargsEEEvT0_,"axG",@progbits,_ZN5aiter22opus_moe_sorting_entryINS_16MoeSortingKernelINS_19MoeSortingProblemExIifLi1ELb1ELb0ELb1ELb1ELi0EEEEENS4_5KargsEEEvT0_,comdat
.Lfunc_end20:
	.size	_ZN5aiter22opus_moe_sorting_entryINS_16MoeSortingKernelINS_19MoeSortingProblemExIifLi1ELb1ELb0ELb1ELb1ELi0EEEEENS4_5KargsEEEvT0_, .Lfunc_end20-_ZN5aiter22opus_moe_sorting_entryINS_16MoeSortingKernelINS_19MoeSortingProblemExIifLi1ELb1ELb0ELb1ELb1ELi0EEEEENS4_5KargsEEEvT0_
                                        ; -- End function
	.section	.AMDGPU.csdata,"",@progbits
; Kernel info:
; codeLenInByte = 2972
; NumSgprs: 40
; NumVgprs: 20
; ScratchSize: 0
; MemoryBound: 0
; FloatMode: 240
; IeeeMode: 1
; LDSByteSize: 0 bytes/workgroup (compile time only)
; SGPRBlocks: 4
; VGPRBlocks: 2
; NumSGPRsForWavesPerEU: 40
; NumVGPRsForWavesPerEU: 20
; Occupancy: 16
; WaveLimiterHint : 1
; COMPUTE_PGM_RSRC2:SCRATCH_EN: 0
; COMPUTE_PGM_RSRC2:USER_SGPR: 15
; COMPUTE_PGM_RSRC2:TRAP_HANDLER: 0
; COMPUTE_PGM_RSRC2:TGID_X_EN: 1
; COMPUTE_PGM_RSRC2:TGID_Y_EN: 0
; COMPUTE_PGM_RSRC2:TGID_Z_EN: 0
; COMPUTE_PGM_RSRC2:TIDIG_COMP_CNT: 0
	.section	.text._ZN5aiter22opus_moe_sorting_entryINS_16MoeSortingKernelINS_19MoeSortingProblemExIifLi8ELb1ELb0ELb0ELb1ELi0EEEEENS4_5KargsEEEvT0_,"axG",@progbits,_ZN5aiter22opus_moe_sorting_entryINS_16MoeSortingKernelINS_19MoeSortingProblemExIifLi8ELb1ELb0ELb0ELb1ELi0EEEEENS4_5KargsEEEvT0_,comdat
	.protected	_ZN5aiter22opus_moe_sorting_entryINS_16MoeSortingKernelINS_19MoeSortingProblemExIifLi8ELb1ELb0ELb0ELb1ELi0EEEEENS4_5KargsEEEvT0_ ; -- Begin function _ZN5aiter22opus_moe_sorting_entryINS_16MoeSortingKernelINS_19MoeSortingProblemExIifLi8ELb1ELb0ELb0ELb1ELi0EEEEENS4_5KargsEEEvT0_
	.globl	_ZN5aiter22opus_moe_sorting_entryINS_16MoeSortingKernelINS_19MoeSortingProblemExIifLi8ELb1ELb0ELb0ELb1ELi0EEEEENS4_5KargsEEEvT0_
	.p2align	8
	.type	_ZN5aiter22opus_moe_sorting_entryINS_16MoeSortingKernelINS_19MoeSortingProblemExIifLi8ELb1ELb0ELb0ELb1ELi0EEEEENS4_5KargsEEEvT0_,@function
_ZN5aiter22opus_moe_sorting_entryINS_16MoeSortingKernelINS_19MoeSortingProblemExIifLi8ELb1ELb0ELb0ELb1ELi0EEEEENS4_5KargsEEEvT0_: ; @_ZN5aiter22opus_moe_sorting_entryINS_16MoeSortingKernelINS_19MoeSortingProblemExIifLi8ELb1ELb0ELb0ELb1ELi0EEEEENS4_5KargsEEEvT0_
; %bb.0:
	s_clause 0x1
	s_load_b256 s[16:23], s[0:1], 0x20
	s_load_b256 s[24:31], s[0:1], 0x40
	s_cmp_eq_u32 s15, 0
	s_cbranch_scc1 .LBB21_7
; %bb.1:
	s_waitcnt lgkmcnt(0)
	s_cmp_eq_u64 s[24:25], 0
	s_cbranch_scc1 .LBB21_6
; %bb.2:
	s_mul_i32 s2, s30, s28
	s_ashr_i32 s3, s31, 31
	s_mul_hi_u32 s4, s2, s31
	s_mul_i32 s3, s2, s3
	s_mul_hi_i32 s5, s30, s28
	s_add_i32 s3, s4, s3
	s_mul_i32 s5, s5, s31
	s_mul_i32 s2, s2, s31
	s_add_i32 s3, s3, s5
	v_mov_b32_e32 v2, 0
	s_ashr_i32 s4, s3, 31
	s_mov_b32 s7, 0
	s_lshr_b32 s4, s4, 28
	s_delay_alu instid0(SALU_CYCLE_1) | instskip(SKIP_2) | instid1(SALU_CYCLE_1)
	s_add_u32 s2, s2, s4
	s_addc_u32 s3, s3, 0
	s_lshl_b32 s4, s15, 8
	v_add3_u32 v1, v0, s4, 0xffffff00
	s_ashr_i64 s[4:5], s[2:3], 4
	s_mov_b32 s3, exec_lo
	s_delay_alu instid0(VALU_DEP_1)
	v_cmpx_gt_i64_e64 s[4:5], v[1:2]
	s_cbranch_execz .LBB21_5
; %bb.3:
	s_load_b32 s2, s[0:1], 0x90
	v_lshlrev_b64 v[3:4], 4, v[1:2]
	v_dual_mov_b32 v6, v2 :: v_dual_mov_b32 v5, v1
	v_mov_b32_e32 v1, v2
	s_delay_alu instid0(VALU_DEP_3) | instskip(NEXT) | instid1(VALU_DEP_4)
	v_add_co_u32 v7, vcc_lo, s24, v3
	v_add_co_ci_u32_e32 v8, vcc_lo, s25, v4, vcc_lo
	v_mov_b32_e32 v3, v2
	v_mov_b32_e32 v4, v2
	s_waitcnt lgkmcnt(0)
	s_lshl_b32 s2, s2, 8
	s_delay_alu instid0(SALU_CYCLE_1) | instskip(NEXT) | instid1(SALU_CYCLE_1)
	s_add_i32 s6, s2, 0xffffff00
	s_lshl_b64 s[8:9], s[6:7], 4
.LBB21_4:                               ; =>This Inner Loop Header: Depth=1
	v_add_co_u32 v5, vcc_lo, v5, s6
	v_add_co_ci_u32_e32 v6, vcc_lo, 0, v6, vcc_lo
	global_store_b128 v[7:8], v[1:4], off
	v_add_co_u32 v7, s2, v7, s8
	v_cmp_le_i64_e32 vcc_lo, s[4:5], v[5:6]
	v_add_co_ci_u32_e64 v8, s2, s9, v8, s2
	s_or_b32 s7, vcc_lo, s7
	s_delay_alu instid0(SALU_CYCLE_1)
	s_and_not1_b32 exec_lo, exec_lo, s7
	s_cbranch_execnz .LBB21_4
.LBB21_5:
	s_or_b32 exec_lo, exec_lo, s3
.LBB21_6:
	s_cbranch_execz .LBB21_8
	s_branch .LBB21_67
.LBB21_7:
.LBB21_8:
	s_clause 0x1
	s_load_b256 s[36:43], s[0:1], 0x64
	s_load_b64 s[2:3], s[0:1], 0x84
	v_lshrrev_b32_e32 v1, 5, v0
	s_waitcnt lgkmcnt(0)
	s_add_i32 s8, s29, 1
	s_mov_b32 s11, exec_lo
	s_delay_alu instid0(VALU_DEP_1) | instskip(SKIP_1) | instid1(SALU_CYCLE_1)
	v_readfirstlane_b32 s25, v1
	s_add_i32 s10, s36, -2
	s_mul_i32 s9, s10, s29
	s_delay_alu instid0(SALU_CYCLE_1)
	v_cmpx_gt_i32_e64 s9, v0
	s_cbranch_execz .LBB21_11
; %bb.9:
	v_dual_mov_b32 v4, 0 :: v_dual_lshlrev_b32 v3, 2, v0
	s_lshl_b32 s4, s29, 3
	v_mad_u64_u32 v[1:2], null, v0, s2, 0
	s_add_i32 s4, s4, 0
	v_mov_b32_e32 v5, v0
	v_add3_u32 v3, s4, v3, 8
	s_mov_b32 s5, 0
	s_sub_i32 s6, s8, s43
	s_mov_b32 s4, s2
	s_lshl_b32 s12, s6, 2
	s_lshl_b64 s[6:7], s[4:5], 8
	.p2align	6
.LBB21_10:                              ; =>This Inner Loop Header: Depth=1
	v_add_nc_u32_e32 v6, v5, v2
	v_add_nc_u32_e32 v5, 0x100, v5
	v_add_co_u32 v1, vcc_lo, v1, s6
	v_add_co_ci_u32_e32 v2, vcc_lo, s7, v2, vcc_lo
	s_delay_alu instid0(VALU_DEP_4) | instskip(NEXT) | instid1(VALU_DEP_4)
	v_lshrrev_b32_e32 v8, s3, v6
	v_cmp_le_i32_e64 s2, s9, v5
	s_delay_alu instid0(VALU_DEP_2) | instskip(SKIP_1) | instid1(VALU_DEP_3)
	v_mad_u64_u32 v[6:7], null, s12, v8, v[3:4]
	v_add_nc_u32_e32 v3, 0x400, v3
	s_or_b32 s5, s2, s5
	ds_store_b32 v6, v4
	s_and_not1_b32 exec_lo, exec_lo, s5
	s_cbranch_execnz .LBB21_10
.LBB21_11:
	s_or_b32 exec_lo, exec_lo, s11
	s_load_b128 s[12:15], s[0:1], 0x0
	s_cmp_gt_i32 s28, 0
	s_mov_b32 s3, 0
	s_cselect_b32 s24, -1, 0
	s_cmp_lt_i32 s28, 1
	s_mul_i32 s11, s40, s10
	s_waitcnt lgkmcnt(0)
	s_waitcnt_vscnt null, 0x0
	s_barrier
	buffer_gl0_inv
	s_cbranch_scc1 .LBB21_19
; %bb.12:
	v_mad_u64_u32 v[1:2], null, v0, s41, 0
	v_cmp_gt_i32_e32 vcc_lo, s11, v0
	v_mov_b32_e32 v4, 0
	s_lshl_b32 s0, s8, 3
	s_mov_b32 s2, s41
	s_add_i32 s6, s0, 0
	s_sub_i32 s7, 0, s40
	s_lshl_b64 s[4:5], s[2:3], 8
	s_mov_b32 s2, 0
	s_branch .LBB21_14
.LBB21_13:                              ;   in Loop: Header=BB21_14 Depth=1
	s_set_inst_prefetch_distance 0x2
	s_or_b32 exec_lo, exec_lo, s9
	s_add_i32 s2, s2, s10
	s_add_i32 s3, s3, s11
	s_cmp_ge_i32 s2, s28
	s_waitcnt lgkmcnt(0)
	s_barrier
	buffer_gl0_inv
	s_cbranch_scc1 .LBB21_19
.LBB21_14:                              ; =>This Loop Header: Depth=1
                                        ;     Child Loop BB21_17 Depth 2
	s_and_saveexec_b32 s9, vcc_lo
	s_cbranch_execz .LBB21_13
; %bb.15:                               ;   in Loop: Header=BB21_14 Depth=1
	v_dual_mov_b32 v6, v2 :: v_dual_mov_b32 v5, v1
	v_mov_b32_e32 v7, v0
	s_mov_b32 s30, 0
	s_set_inst_prefetch_distance 0x1
	s_branch .LBB21_17
	.p2align	6
.LBB21_16:                              ;   in Loop: Header=BB21_17 Depth=2
	s_or_b32 exec_lo, exec_lo, s1
	v_add_nc_u32_e32 v7, 0x100, v7
	v_add_co_u32 v5, s1, v5, s4
	s_delay_alu instid0(VALU_DEP_1) | instskip(NEXT) | instid1(VALU_DEP_3)
	v_add_co_ci_u32_e64 v6, s1, s5, v6, s1
	v_cmp_le_i32_e64 s0, s11, v7
	s_waitcnt vmcnt(48) lgkmcnt(7)
	s_delay_alu instid0(VALU_DEP_1) | instskip(NEXT) | instid1(SALU_CYCLE_1)
	s_or_b32 s30, s0, s30
	s_and_not1_b32 exec_lo, exec_lo, s30
	s_cbranch_execz .LBB21_13
.LBB21_17:                              ;   Parent Loop BB21_14 Depth=1
                                        ; =>  This Inner Loop Header: Depth=2
	s_delay_alu instid0(VALU_DEP_1) | instskip(SKIP_1) | instid1(VALU_DEP_1)
	v_add_nc_u32_e32 v3, v7, v6
	s_mov_b32 s1, exec_lo
	v_lshrrev_b32_e32 v8, s42, v3
	s_delay_alu instid0(VALU_DEP_1) | instskip(NEXT) | instid1(VALU_DEP_1)
	v_add_nc_u32_e32 v3, s2, v8
	v_cmpx_gt_i32_e64 s28, v3
	s_cbranch_execz .LBB21_16
; %bb.18:                               ;   in Loop: Header=BB21_17 Depth=2
	v_add_nc_u32_e32 v3, s3, v7
	s_delay_alu instid0(VALU_DEP_1) | instskip(NEXT) | instid1(VALU_DEP_1)
	v_lshlrev_b64 v[9:10], 2, v[3:4]
	v_add_co_u32 v9, s0, s12, v9
	s_delay_alu instid0(VALU_DEP_1) | instskip(SKIP_3) | instid1(VALU_DEP_2)
	v_add_co_ci_u32_e64 v10, s0, s13, v10, s0
	global_load_b32 v3, v[9:10], off
	v_mul_lo_u32 v9, v8, s8
	v_mul_lo_u32 v8, s7, v8
	v_lshlrev_b32_e32 v9, 2, v9
	s_delay_alu instid0(VALU_DEP_2) | instskip(SKIP_2) | instid1(VALU_DEP_1)
	v_add3_u32 v8, v7, v8, 1
	s_waitcnt vmcnt(0)
	v_lshlrev_b32_e32 v3, 2, v3
	v_add3_u32 v3, s6, v3, v9
	ds_store_b32 v3, v8
	s_branch .LBB21_16
.LBB21_19:
	s_mov_b32 s0, exec_lo
	v_cmpx_eq_u32_e32 0, v0
	s_cbranch_execz .LBB21_21
; %bb.20:
	v_mov_b32_e32 v1, 0
	ds_store_b32 v1, v1
.LBB21_21:
	s_or_b32 exec_lo, exec_lo, s0
	v_and_b32_e32 v5, 7, v0
	v_lshrrev_b32_e32 v6, 3, v0
	v_mbcnt_lo_u32_b32 v9, -1, 0
	s_mov_b32 s31, 0
	s_delay_alu instid0(VALU_DEP_3) | instskip(NEXT) | instid1(VALU_DEP_3)
	v_mul_lo_u32 v1, s8, v5
	v_cmp_gt_i32_e64 s0, s29, v6
	v_lshlrev_b32_e32 v8, 2, v6
	s_delay_alu instid0(VALU_DEP_3) | instskip(NEXT) | instid1(VALU_DEP_3)
	v_lshlrev_b32_e32 v7, 2, v1
	s_and_saveexec_b32 s30, s0
	s_cbranch_execz .LBB21_29
; %bb.22:
	s_cmp_gt_i32 s36, 2
	v_dual_mov_b32 v10, v6 :: v_dual_lshlrev_b32 v3, 2, v9
	s_cselect_b32 s33, -1, 0
	s_lshl_b32 s1, s29, 3
	s_lshl_b32 s35, s29, 8
	v_add3_u32 v4, v7, s1, v8
	v_cmp_eq_u32_e64 s1, 0, v5
	v_xor_b32_e32 v1, 4, v3
	v_xor_b32_e32 v2, 8, v3
	;; [unrolled: 1-line block ×3, first 2 shown]
	v_add3_u32 v4, v4, 0, 8
	s_lshl_b32 s34, s29, 5
	s_addk_i32 s35, 0x100
	s_add_i32 s36, s34, 32
	s_branch .LBB21_24
.LBB21_23:                              ;   in Loop: Header=BB21_24 Depth=1
	s_or_b32 exec_lo, exec_lo, s2
	v_add_nc_u32_e32 v10, 32, v10
	v_add_nc_u32_e32 v4, 0x80, v4
	s_delay_alu instid0(VALU_DEP_2) | instskip(SKIP_1) | instid1(SALU_CYCLE_1)
	v_cmp_le_i32_e32 vcc_lo, s29, v10
	s_or_b32 s31, vcc_lo, s31
	s_and_not1_b32 exec_lo, exec_lo, s31
	s_cbranch_execz .LBB21_29
.LBB21_24:                              ; =>This Loop Header: Depth=1
                                        ;     Child Loop BB21_26 Depth 2
	v_mov_b32_e32 v11, 0
	s_and_not1_b32 vcc_lo, exec_lo, s33
	s_cbranch_vccnz .LBB21_27
; %bb.25:                               ;   in Loop: Header=BB21_24 Depth=1
	v_dual_mov_b32 v11, 0 :: v_dual_mov_b32 v12, v4
	s_mov_b32 s41, 0
.LBB21_26:                              ;   Parent Loop BB21_24 Depth=1
                                        ; =>  This Inner Loop Header: Depth=2
	s_delay_alu instid0(VALU_DEP_1) | instskip(SKIP_2) | instid1(SALU_CYCLE_1)
	v_add_nc_u32_e32 v13, s34, v12
	ds_load_b32 v14, v12
	s_add_i32 s41, s41, 64
	s_cmp_lt_i32 s41, s10
	v_add_nc_u32_e32 v15, s36, v13
	ds_load_b32 v13, v13 offset:32
	v_add_nc_u32_e32 v16, s36, v15
	ds_load_b32 v15, v15 offset:32
	v_add_nc_u32_e32 v17, s36, v16
	ds_load_b32 v16, v16 offset:32
	v_add_nc_u32_e32 v12, s35, v12
	v_add_nc_u32_e32 v18, s36, v17
	s_waitcnt lgkmcnt(3)
	v_cmp_ne_u32_e32 vcc_lo, 0, v14
	ds_load_b32 v17, v17 offset:32
	ds_load_b32 v19, v18 offset:32
	v_add_nc_u32_e32 v18, s36, v18
	v_cndmask_b32_e64 v14, 0, 1, vcc_lo
	s_waitcnt lgkmcnt(4)
	v_cmp_ne_u32_e64 s2, 0, v13
	ds_load_b32 v20, v18 offset:32
	ds_bpermute_b32 v14, v1, v14
	v_cndmask_b32_e64 v13, 0, 1, s2
	s_waitcnt lgkmcnt(5)
	v_cmp_ne_u32_e64 s3, 0, v15
	v_add_nc_u32_e32 v18, s36, v18
	s_waitcnt lgkmcnt(4)
	v_cmp_ne_u32_e64 s4, 0, v16
	ds_bpermute_b32 v13, v1, v13
	v_cndmask_b32_e64 v15, 0, 1, s3
	ds_load_b32 v18, v18 offset:32
	v_cndmask_b32_e64 v16, 0, 1, s4
	ds_bpermute_b32 v15, v1, v15
	s_waitcnt lgkmcnt(6)
	v_cmp_ne_u32_e64 s5, 0, v17
	ds_bpermute_b32 v16, v1, v16
	v_cndmask_b32_e64 v17, 0, 1, s5
	s_waitcnt lgkmcnt(4)
	v_add_co_ci_u32_e64 v21, s6, 0, v14, vcc_lo
	v_cmp_ne_u32_e64 s6, 0, v19
	ds_bpermute_b32 v17, v1, v17
	ds_bpermute_b32 v21, v2, v21
	s_waitcnt lgkmcnt(5)
	v_add_co_ci_u32_e64 v22, s7, 0, v13, s2
	v_cndmask_b32_e64 v19, 0, 1, s6
	v_cmp_ne_u32_e64 s7, 0, v20
	ds_bpermute_b32 v22, v2, v22
	s_waitcnt lgkmcnt(4)
	v_add_co_ci_u32_e64 v23, s8, 0, v15, s3
	v_cndmask_b32_e64 v20, 0, 1, s7
	ds_bpermute_b32 v19, v1, v19
	v_cmp_ne_u32_e64 s8, 0, v18
	ds_bpermute_b32 v23, v2, v23
	s_waitcnt lgkmcnt(5)
	v_add_co_ci_u32_e64 v24, s9, 0, v16, s4
	ds_bpermute_b32 v20, v1, v20
	v_cndmask_b32_e64 v18, 0, 1, s8
	s_waitcnt lgkmcnt(5)
	v_add_co_ci_u32_e64 v25, s9, 0, v17, s5
	ds_bpermute_b32 v24, v2, v24
	ds_bpermute_b32 v18, v1, v18
	s_waitcnt lgkmcnt(6)
	v_add_co_ci_u32_e32 v14, vcc_lo, v21, v14, vcc_lo
	ds_bpermute_b32 v21, v2, v25
	s_waitcnt lgkmcnt(6)
	v_add_co_ci_u32_e64 v13, vcc_lo, v22, v13, s2
	ds_bpermute_b32 v22, v3, v14
	s_waitcnt lgkmcnt(6)
	v_add_co_ci_u32_e64 v25, vcc_lo, 0, v19, s6
	;; [unrolled: 3-line block ×3, first 2 shown]
	s_waitcnt lgkmcnt(5)
	v_add_co_ci_u32_e64 v26, vcc_lo, 0, v20, s7
	ds_bpermute_b32 v25, v2, v25
	ds_bpermute_b32 v28, v3, v15
	ds_bpermute_b32 v23, v2, v26
	s_waitcnt lgkmcnt(6)
	v_add_co_ci_u32_e64 v26, vcc_lo, 0, v18, s8
	v_add_co_ci_u32_e64 v16, vcc_lo, v24, v16, s4
	s_waitcnt lgkmcnt(5)
	v_add_co_ci_u32_e64 v17, vcc_lo, v21, v17, s5
	ds_bpermute_b32 v24, v2, v26
	ds_bpermute_b32 v21, v3, v16
	s_waitcnt lgkmcnt(6)
	v_add3_u32 v11, v14, v11, v22
	ds_bpermute_b32 v14, v3, v17
	s_waitcnt lgkmcnt(6)
	v_add3_u32 v11, v11, v13, v27
	s_waitcnt lgkmcnt(5)
	v_add_co_ci_u32_e64 v19, vcc_lo, v25, v19, s6
	s_waitcnt lgkmcnt(4)
	s_delay_alu instid0(VALU_DEP_2)
	v_add3_u32 v11, v11, v15, v28
	s_waitcnt lgkmcnt(3)
	v_add_co_ci_u32_e64 v13, vcc_lo, v23, v20, s7
	ds_bpermute_b32 v20, v3, v19
	ds_bpermute_b32 v15, v3, v13
	s_waitcnt lgkmcnt(4)
	v_add_co_ci_u32_e64 v18, vcc_lo, v24, v18, s8
	s_waitcnt lgkmcnt(3)
	v_add3_u32 v11, v11, v16, v21
	ds_bpermute_b32 v16, v3, v18
	s_waitcnt lgkmcnt(3)
	v_add3_u32 v11, v11, v17, v14
	s_waitcnt lgkmcnt(2)
	s_delay_alu instid0(VALU_DEP_1) | instskip(SKIP_1) | instid1(VALU_DEP_1)
	v_add3_u32 v11, v11, v19, v20
	s_waitcnt lgkmcnt(1)
	v_add3_u32 v11, v11, v13, v15
	s_waitcnt lgkmcnt(0)
	s_delay_alu instid0(VALU_DEP_1)
	v_add3_u32 v11, v11, v18, v16
	s_cbranch_scc1 .LBB21_26
.LBB21_27:                              ;   in Loop: Header=BB21_24 Depth=1
	s_and_saveexec_b32 s2, s1
	s_cbranch_execz .LBB21_23
; %bb.28:                               ;   in Loop: Header=BB21_24 Depth=1
	v_lshl_add_u32 v12, v10, 2, 0
	ds_store_b32 v12, v11 offset:4
	s_branch .LBB21_23
.LBB21_29:
	s_or_b32 exec_lo, exec_lo, s30
	s_cmp_lg_u32 s25, 0
	s_mov_b32 s3, 0
	s_waitcnt lgkmcnt(0)
	s_barrier
	buffer_gl0_inv
	s_cbranch_scc1 .LBB21_38
; %bb.30:
	v_mov_b32_e32 v1, 0
	s_cmp_lt_i32 s29, 1
	s_cbranch_scc1 .LBB21_35
; %bb.31:
	v_lshlrev_b32_e32 v1, 2, v9
	v_cmp_eq_u32_e32 vcc_lo, 0, v9
	v_cmp_lt_u32_e64 s1, 15, v9
	s_add_i32 s4, s37, -1
	s_delay_alu instid0(VALU_DEP_3) | instskip(SKIP_1) | instid1(VALU_DEP_2)
	v_and_b32_e32 v2, 64, v1
	v_add3_u32 v3, v1, 0, 4
	v_add_nc_u32_e32 v2, -4, v2
	s_set_inst_prefetch_distance 0x1
	s_branch .LBB21_33
	.p2align	6
.LBB21_32:                              ;   in Loop: Header=BB21_33 Depth=1
	s_or_b32 exec_lo, exec_lo, s5
	v_add_nc_u32_e32 v3, 0x80, v3
	s_add_i32 s3, s3, 32
	s_waitcnt vmcnt(48) lgkmcnt(7)
	s_cmp_lt_i32 s3, s29
	s_cbranch_scc0 .LBB21_35
.LBB21_33:                              ; =>This Inner Loop Header: Depth=1
	ds_load_b32 v1, v3
	v_cndmask_b32_e64 v4, 0, s3, vcc_lo
	s_mov_b32 s5, exec_lo
	s_delay_alu instid0(VALU_DEP_1) | instskip(SKIP_4) | instid1(VALU_DEP_1)
	v_lshl_add_u32 v4, v4, 2, 0
	s_waitcnt lgkmcnt(0)
	v_add_nc_u32_e32 v10, s4, v1
	ds_load_b32 v1, v4
	v_mul_hi_u32 v4, v10, s38
	v_add_nc_u32_e32 v4, v10, v4
	s_delay_alu instid0(VALU_DEP_1) | instskip(SKIP_1) | instid1(VALU_DEP_1)
	v_lshrrev_b32_e32 v4, s39, v4
	s_waitcnt lgkmcnt(0)
	v_mad_u64_u32 v[10:11], null, v4, s37, v[1:2]
	s_delay_alu instid0(VALU_DEP_1) | instskip(SKIP_1) | instid1(VALU_DEP_2)
	v_add_nc_u32_dpp v1, v10, v10 row_shr:1 row_mask:0xf bank_mask:0xf bound_ctrl:1
	v_add_nc_u32_e32 v10, s3, v9
	v_add_nc_u32_dpp v1, v1, v1 row_shr:2 row_mask:0xf bank_mask:0xf bound_ctrl:1
	s_delay_alu instid0(VALU_DEP_1) | instskip(NEXT) | instid1(VALU_DEP_1)
	v_add_nc_u32_dpp v1, v1, v1 row_shr:4 row_mask:0xf bank_mask:0xf bound_ctrl:1
	v_add_nc_u32_dpp v1, v1, v1 row_shr:8 row_mask:0xf bank_mask:0xf bound_ctrl:1
	ds_bpermute_b32 v4, v2, v1
	s_waitcnt lgkmcnt(0)
	v_cndmask_b32_e64 v4, 0, v4, s1
	s_delay_alu instid0(VALU_DEP_1)
	v_add_nc_u32_e32 v1, v1, v4
	v_cmpx_gt_i32_e64 s29, v10
	s_cbranch_execz .LBB21_32
; %bb.34:                               ;   in Loop: Header=BB21_33 Depth=1
	ds_store_b32 v3, v1
	s_branch .LBB21_32
.LBB21_35:
	s_set_inst_prefetch_distance 0x2
	v_add3_u32 v2, v9, s3, 0xffffffe1
	s_mov_b32 s1, exec_lo
	s_delay_alu instid0(VALU_DEP_1)
	v_cmpx_eq_u32_e64 s29, v2
	s_cbranch_execz .LBB21_37
; %bb.36:
	v_dual_mov_b32 v3, 0 :: v_dual_mov_b32 v2, s28
	global_store_b64 v3, v[1:2], s[22:23]
.LBB21_37:
	s_or_b32 exec_lo, exec_lo, s1
.LBB21_38:
	s_cmp_eq_u64 s[26:27], 0
	s_waitcnt lgkmcnt(0)
	s_waitcnt_vscnt null, 0x0
	s_barrier
	buffer_gl0_inv
	s_cbranch_scc1 .LBB21_43
; %bb.39:
	s_mul_i32 s2, s40, s28
	s_mov_b32 s3, exec_lo
	v_cmpx_gt_i32_e64 s2, v0
	s_cbranch_execz .LBB21_42
; %bb.40:
	v_dual_mov_b32 v10, v0 :: v_dual_lshlrev_b32 v3, 2, v0
	s_mov_b32 s4, 0
	s_delay_alu instid0(VALU_DEP_1) | instskip(NEXT) | instid1(VALU_DEP_1)
	v_add_co_u32 v1, s1, s12, v3
	v_add_co_ci_u32_e64 v2, null, s13, 0, s1
	v_add_co_u32 v3, s1, s26, v3
	s_delay_alu instid0(VALU_DEP_1)
	v_add_co_ci_u32_e64 v4, null, s27, 0, s1
	.p2align	6
.LBB21_41:                              ; =>This Inner Loop Header: Depth=1
	global_load_b32 v11, v[1:2], off
	v_add_nc_u32_e32 v10, 0x100, v10
	v_add_co_u32 v1, vcc_lo, 0x400, v1
	v_add_co_ci_u32_e32 v2, vcc_lo, 0, v2, vcc_lo
	s_delay_alu instid0(VALU_DEP_3) | instskip(SKIP_4) | instid1(VALU_DEP_1)
	v_cmp_le_i32_e32 vcc_lo, s2, v10
	s_or_b32 s4, vcc_lo, s4
	s_waitcnt vmcnt(0)
	global_store_b32 v[3:4], v11, off
	v_add_co_u32 v3, s1, 0x400, v3
	v_add_co_ci_u32_e64 v4, s1, 0, v4, s1
	s_and_not1_b32 exec_lo, exec_lo, s4
	s_cbranch_execnz .LBB21_41
.LBB21_42:
	s_or_b32 exec_lo, exec_lo, s3
	s_waitcnt_vscnt null, 0x0
	s_barrier
	buffer_gl0_inv
.LBB21_43:
	s_lshl_b32 s3, s29, 2
	v_cmp_gt_i32_e64 s1, s29, v0
	s_add_i32 s4, s3, 0
	s_mov_b32 s6, 0
	s_add_i32 s5, s4, 4
	s_delay_alu instid0(VALU_DEP_1)
	s_and_saveexec_b32 s7, s1
	s_cbranch_execz .LBB21_49
; %bb.44:
	v_mov_b32_e32 v2, 0
	v_mov_b32_e32 v10, v0
	s_set_inst_prefetch_distance 0x1
	s_branch .LBB21_46
	.p2align	6
.LBB21_45:                              ;   in Loop: Header=BB21_46 Depth=1
	s_or_b32 exec_lo, exec_lo, s8
	v_add_nc_u32_e32 v10, 0x100, v10
	s_delay_alu instid0(VALU_DEP_1) | instskip(SKIP_1) | instid1(SALU_CYCLE_1)
	v_cmp_le_i32_e32 vcc_lo, s29, v10
	s_or_b32 s6, vcc_lo, s6
	s_and_not1_b32 exec_lo, exec_lo, s6
	s_cbranch_execz .LBB21_49
.LBB21_46:                              ; =>This Loop Header: Depth=1
                                        ;     Child Loop BB21_48 Depth 2
	s_delay_alu instid0(VALU_DEP_1) | instskip(SKIP_1) | instid1(VALU_DEP_1)
	v_lshlrev_b32_e32 v1, 2, v10
	s_mov_b32 s8, exec_lo
	v_add_nc_u32_e32 v3, 0, v1
	v_add_nc_u32_e32 v1, s5, v1
	ds_load_2addr_b32 v[3:4], v3 offset1:1
	s_waitcnt lgkmcnt(0)
	ds_store_b32 v1, v3
	v_cmpx_lt_i32_e64 v3, v4
	s_cbranch_execz .LBB21_45
; %bb.47:                               ;   in Loop: Header=BB21_46 Depth=1
	s_mov_b32 s9, 0
	.p2align	6
.LBB21_48:                              ;   Parent Loop BB21_46 Depth=1
                                        ; =>  This Inner Loop Header: Depth=2
	v_mul_hi_u32 v1, s38, v3
	s_delay_alu instid0(VALU_DEP_1) | instskip(SKIP_1) | instid1(VALU_DEP_2)
	v_add_nc_u32_e32 v1, v3, v1
	v_add_nc_u32_e32 v3, s37, v3
	v_lshrrev_b32_e32 v1, s39, v1
	s_delay_alu instid0(VALU_DEP_2) | instskip(NEXT) | instid1(VALU_DEP_2)
	v_cmp_ge_i32_e32 vcc_lo, v3, v4
	v_lshlrev_b64 v[11:12], 2, v[1:2]
	s_or_b32 s9, vcc_lo, s9
	s_delay_alu instid0(VALU_DEP_1) | instskip(NEXT) | instid1(VALU_DEP_1)
	v_add_co_u32 v11, s2, s20, v11
	v_add_co_ci_u32_e64 v12, s2, s21, v12, s2
	global_store_b32 v[11:12], v10, off
	s_and_not1_b32 exec_lo, exec_lo, s9
	s_cbranch_execnz .LBB21_48
	s_branch .LBB21_45
.LBB21_49:
	s_set_inst_prefetch_distance 0x2
	s_or_b32 exec_lo, exec_lo, s7
	s_add_i32 s2, s4, s3
	s_delay_alu instid0(SALU_CYCLE_1)
	v_dual_mov_b32 v1, s4 :: v_dual_mov_b32 v2, s2
	s_waitcnt lgkmcnt(0)
	s_waitcnt_vscnt null, 0x0
	s_barrier
	buffer_gl0_inv
	ds_load_b32 v1, v1
	s_and_not1_b32 vcc_lo, exec_lo, s24
	s_waitcnt lgkmcnt(0)
	ds_store_b32 v2, v1 offset:4
	s_cbranch_vccnz .LBB21_61
; %bb.50:
	s_add_u32 s6, s16, -4
	s_addc_u32 s7, s17, -1
	s_add_u32 s8, s14, -4
	s_addc_u32 s9, s15, -1
	;; [unrolled: 2-line block ×3, first 2 shown]
	s_lshl_b32 s2, s29, 3
	v_and_b32_e32 v2, 8, v9
	v_add3_u32 v3, v7, s2, v8
	v_mul_lo_u32 v1, s40, v5
	v_cmp_gt_i32_e32 vcc_lo, s10, v5
	s_lshl_b32 s20, s29, 5
	v_cmp_eq_u32_e64 s2, 0, v2
	v_lshl_or_b32 v2, v0, 2, 28
	v_add3_u32 v3, v3, 0, 8
	s_mov_b32 s14, 0
	s_lshl_b32 s15, s40, 3
	s_add_i32 s20, s20, 32
	s_branch .LBB21_52
.LBB21_51:                              ;   in Loop: Header=BB21_52 Depth=1
	s_or_b32 exec_lo, exec_lo, s21
	v_add_nc_u32_e32 v1, s11, v1
	s_add_i32 s14, s14, s10
	s_waitcnt lgkmcnt(0)
	s_waitcnt_vscnt null, 0x0
	s_cmp_ge_i32 s14, s28
	s_barrier
	buffer_gl0_inv
	s_cbranch_scc1 .LBB21_61
.LBB21_52:                              ; =>This Loop Header: Depth=1
                                        ;     Child Loop BB21_56 Depth 2
                                        ;       Child Loop BB21_59 Depth 3
	s_and_saveexec_b32 s21, s0
	s_cbranch_execz .LBB21_51
; %bb.53:                               ;   in Loop: Header=BB21_52 Depth=1
	v_dual_mov_b32 v4, v3 :: v_dual_mov_b32 v7, v6
	s_mov_b32 s22, 0
	s_branch .LBB21_56
.LBB21_54:                              ;   in Loop: Header=BB21_56 Depth=2
	s_or_b32 exec_lo, exec_lo, s24
.LBB21_55:                              ;   in Loop: Header=BB21_56 Depth=2
	s_delay_alu instid0(SALU_CYCLE_1)
	s_or_b32 exec_lo, exec_lo, s23
	v_add_nc_u32_e32 v7, 32, v7
	v_add_nc_u32_e32 v4, 0x80, v4
	s_waitcnt lgkmcnt(0)
	ds_store_b32 v8, v9
	v_cmp_le_i32_e64 s3, s29, v7
	s_delay_alu instid0(VALU_DEP_1) | instskip(NEXT) | instid1(SALU_CYCLE_1)
	s_or_b32 s22, s3, s22
	s_and_not1_b32 exec_lo, exec_lo, s22
	s_cbranch_execz .LBB21_51
.LBB21_56:                              ;   Parent Loop BB21_52 Depth=1
                                        ; =>  This Loop Header: Depth=2
                                        ;       Child Loop BB21_59 Depth 3
	s_delay_alu instid0(VALU_DEP_1)
	v_lshl_add_u32 v8, v7, 2, 0
	ds_load_b32 v9, v8
	s_and_saveexec_b32 s23, vcc_lo
	s_cbranch_execz .LBB21_55
; %bb.57:                               ;   in Loop: Header=BB21_56 Depth=2
	v_dual_mov_b32 v10, v4 :: v_dual_mov_b32 v11, v1
	v_mov_b32_e32 v12, v5
	s_mov_b32 s24, 0
	s_branch .LBB21_59
.LBB21_58:                              ;   in Loop: Header=BB21_59 Depth=3
	s_or_b32 exec_lo, exec_lo, s4
	ds_bpermute_b32 v13, v2, v13
	v_add_nc_u32_e32 v12, 8, v12
	v_add_nc_u32_e32 v11, s15, v11
	;; [unrolled: 1-line block ×3, first 2 shown]
	s_delay_alu instid0(VALU_DEP_3) | instskip(NEXT) | instid1(VALU_DEP_1)
	v_cmp_le_i32_e64 s3, s10, v12
	s_or_b32 s24, s3, s24
	s_waitcnt lgkmcnt(0)
	v_add_nc_u32_e32 v9, v13, v9
	s_and_not1_b32 exec_lo, exec_lo, s24
	s_cbranch_execz .LBB21_54
.LBB21_59:                              ;   Parent Loop BB21_52 Depth=1
                                        ;     Parent Loop BB21_56 Depth=2
                                        ; =>    This Inner Loop Header: Depth=3
	ds_load_b32 v14, v10
	s_waitcnt lgkmcnt(0)
	v_cmp_ne_u32_e64 s3, 0, v14
	s_delay_alu instid0(VALU_DEP_1) | instskip(NEXT) | instid1(VALU_DEP_1)
	v_cndmask_b32_e64 v13, 0, 1, s3
	v_mov_b32_dpp v13, v13 row_shr:1 row_mask:0xf bank_mask:0xf bound_ctrl:1
	s_delay_alu instid0(VALU_DEP_1) | instskip(NEXT) | instid1(VALU_DEP_1)
	v_add_co_ci_u32_e64 v15, s4, 0, v13, s3
	v_mov_b32_dpp v15, v15 row_shr:2 row_mask:0xf bank_mask:0xf bound_ctrl:1
	s_delay_alu instid0(VALU_DEP_1) | instskip(NEXT) | instid1(VALU_DEP_1)
	v_add_co_ci_u32_e64 v13, s4, v15, v13, s3
	v_add_nc_u32_dpp v13, v13, v13 row_shr:4 row_mask:0xf bank_mask:0xf bound_ctrl:1
	s_delay_alu instid0(VALU_DEP_1) | instskip(NEXT) | instid1(VALU_DEP_1)
	v_add_nc_u32_dpp v13, v13, v13 row_shr:8 row_mask:0xf bank_mask:0xf bound_ctrl:1
	v_mov_b32_dpp v15, v13 row_share:7 row_mask:0xf bank_mask:0xf bound_ctrl:1
	s_delay_alu instid0(VALU_DEP_1) | instskip(NEXT) | instid1(VALU_DEP_1)
	v_cndmask_b32_e64 v15, v15, 0, s2
	v_sub_nc_u32_e32 v13, v13, v15
	s_and_saveexec_b32 s4, s3
	s_cbranch_execz .LBB21_58
; %bb.60:                               ;   in Loop: Header=BB21_59 Depth=3
	v_add_nc_u32_e32 v15, v11, v14
	v_add_nc_u32_e32 v17, s14, v12
	s_delay_alu instid0(VALU_DEP_2) | instskip(NEXT) | instid1(VALU_DEP_2)
	v_ashrrev_i32_e32 v16, 31, v15
	v_perm_b32 v17, v14, v17, 0x4020100
	s_delay_alu instid0(VALU_DEP_2) | instskip(NEXT) | instid1(VALU_DEP_2)
	v_lshlrev_b64 v[15:16], 2, v[15:16]
	v_add_nc_u32_e32 v19, 0xff000000, v17
	s_delay_alu instid0(VALU_DEP_2) | instskip(NEXT) | instid1(VALU_DEP_1)
	v_add_co_u32 v15, s3, s8, v15
	v_add_co_ci_u32_e64 v16, s3, s9, v16, s3
	global_load_b32 v18, v[15:16], off
	v_add_nc_u32_e32 v15, v13, v9
	s_delay_alu instid0(VALU_DEP_1) | instskip(NEXT) | instid1(VALU_DEP_1)
	v_ashrrev_i32_e32 v16, 31, v15
	v_lshlrev_b64 v[14:15], 2, v[15:16]
	s_delay_alu instid0(VALU_DEP_1) | instskip(NEXT) | instid1(VALU_DEP_1)
	v_add_co_u32 v16, s3, s6, v14
	v_add_co_ci_u32_e64 v17, s3, s7, v15, s3
	v_add_co_u32 v14, s3, s12, v14
	s_delay_alu instid0(VALU_DEP_1)
	v_add_co_ci_u32_e64 v15, s3, s13, v15, s3
	global_store_b32 v[16:17], v19, off
	s_waitcnt vmcnt(0)
	global_store_b32 v[14:15], v18, off
	s_branch .LBB21_58
.LBB21_61:
	s_and_saveexec_b32 s0, s1
	s_cbranch_execz .LBB21_67
; %bb.62:
	v_mov_b32_e32 v6, 0
	s_and_b32 s0, s28, 0xffffff
	s_lshl_b32 s1, s40, 24
	s_add_i32 s5, s5, 4
	s_or_b32 s1, s1, s0
	s_mov_b32 s2, 0
	s_set_inst_prefetch_distance 0x1
	s_branch .LBB21_64
	.p2align	6
.LBB21_63:                              ;   in Loop: Header=BB21_64 Depth=1
	s_or_b32 exec_lo, exec_lo, s3
	v_add_nc_u32_e32 v0, 0x100, v0
	s_delay_alu instid0(VALU_DEP_1) | instskip(SKIP_1) | instid1(SALU_CYCLE_1)
	v_cmp_le_i32_e32 vcc_lo, s29, v0
	s_or_b32 s2, vcc_lo, s2
	s_and_not1_b32 exec_lo, exec_lo, s2
	s_cbranch_execz .LBB21_67
.LBB21_64:                              ; =>This Loop Header: Depth=1
                                        ;     Child Loop BB21_66 Depth 2
	v_lshlrev_b32_e32 v1, 2, v0
	s_mov_b32 s3, exec_lo
	s_delay_alu instid0(VALU_DEP_1)
	v_add_nc_u32_e32 v2, 0, v1
	v_add_nc_u32_e32 v3, s5, v1
	ds_load_b32 v1, v2
	ds_load_b32 v7, v3
	s_waitcnt lgkmcnt(0)
	v_cmpx_lt_i32_e64 v1, v7
	s_cbranch_execz .LBB21_63
; %bb.65:                               ;   in Loop: Header=BB21_64 Depth=1
	v_ashrrev_i32_e32 v2, 31, v1
	s_mov_b32 s4, 0
	s_delay_alu instid0(VALU_DEP_1) | instskip(NEXT) | instid1(VALU_DEP_1)
	v_lshlrev_b64 v[4:5], 2, v[1:2]
	v_add_co_u32 v2, vcc_lo, s16, v4
	s_delay_alu instid0(VALU_DEP_2)
	v_add_co_ci_u32_e32 v3, vcc_lo, s17, v5, vcc_lo
	v_add_co_u32 v4, vcc_lo, s18, v4
	v_add_co_ci_u32_e32 v5, vcc_lo, s19, v5, vcc_lo
	.p2align	6
.LBB21_66:                              ;   Parent Loop BB21_64 Depth=1
                                        ; =>  This Inner Loop Header: Depth=2
	v_dual_mov_b32 v8, s1 :: v_dual_add_nc_u32 v1, 1, v1
	global_store_b32 v[4:5], v6, off
	v_add_co_u32 v4, vcc_lo, v4, 4
	v_add_co_ci_u32_e32 v5, vcc_lo, 0, v5, vcc_lo
	global_store_b32 v[2:3], v8, off
	v_cmp_ge_i32_e32 vcc_lo, v1, v7
	v_add_co_u32 v2, s0, v2, 4
	s_delay_alu instid0(VALU_DEP_1) | instskip(SKIP_1) | instid1(SALU_CYCLE_1)
	v_add_co_ci_u32_e64 v3, s0, 0, v3, s0
	s_or_b32 s4, vcc_lo, s4
	s_and_not1_b32 exec_lo, exec_lo, s4
	s_cbranch_execnz .LBB21_66
	s_branch .LBB21_63
.LBB21_67:
	s_set_inst_prefetch_distance 0x2
	s_nop 0
	s_sendmsg sendmsg(MSG_DEALLOC_VGPRS)
	s_endpgm
	.section	.rodata,"a",@progbits
	.p2align	6, 0x0
	.amdhsa_kernel _ZN5aiter22opus_moe_sorting_entryINS_16MoeSortingKernelINS_19MoeSortingProblemExIifLi8ELb1ELb0ELb0ELb1ELi0EEEEENS4_5KargsEEEvT0_
		.amdhsa_group_segment_fixed_size 0
		.amdhsa_private_segment_fixed_size 0
		.amdhsa_kernarg_size 400
		.amdhsa_user_sgpr_count 15
		.amdhsa_user_sgpr_dispatch_ptr 0
		.amdhsa_user_sgpr_queue_ptr 0
		.amdhsa_user_sgpr_kernarg_segment_ptr 1
		.amdhsa_user_sgpr_dispatch_id 0
		.amdhsa_user_sgpr_private_segment_size 0
		.amdhsa_wavefront_size32 1
		.amdhsa_uses_dynamic_stack 0
		.amdhsa_enable_private_segment 0
		.amdhsa_system_sgpr_workgroup_id_x 1
		.amdhsa_system_sgpr_workgroup_id_y 0
		.amdhsa_system_sgpr_workgroup_id_z 0
		.amdhsa_system_sgpr_workgroup_info 0
		.amdhsa_system_vgpr_workitem_id 0
		.amdhsa_next_free_vgpr 29
		.amdhsa_next_free_sgpr 44
		.amdhsa_reserve_vcc 1
		.amdhsa_float_round_mode_32 0
		.amdhsa_float_round_mode_16_64 0
		.amdhsa_float_denorm_mode_32 3
		.amdhsa_float_denorm_mode_16_64 3
		.amdhsa_dx10_clamp 1
		.amdhsa_ieee_mode 1
		.amdhsa_fp16_overflow 0
		.amdhsa_workgroup_processor_mode 1
		.amdhsa_memory_ordered 1
		.amdhsa_forward_progress 0
		.amdhsa_shared_vgpr_count 0
		.amdhsa_exception_fp_ieee_invalid_op 0
		.amdhsa_exception_fp_denorm_src 0
		.amdhsa_exception_fp_ieee_div_zero 0
		.amdhsa_exception_fp_ieee_overflow 0
		.amdhsa_exception_fp_ieee_underflow 0
		.amdhsa_exception_fp_ieee_inexact 0
		.amdhsa_exception_int_div_zero 0
	.end_amdhsa_kernel
	.section	.text._ZN5aiter22opus_moe_sorting_entryINS_16MoeSortingKernelINS_19MoeSortingProblemExIifLi8ELb1ELb0ELb0ELb1ELi0EEEEENS4_5KargsEEEvT0_,"axG",@progbits,_ZN5aiter22opus_moe_sorting_entryINS_16MoeSortingKernelINS_19MoeSortingProblemExIifLi8ELb1ELb0ELb0ELb1ELi0EEEEENS4_5KargsEEEvT0_,comdat
.Lfunc_end21:
	.size	_ZN5aiter22opus_moe_sorting_entryINS_16MoeSortingKernelINS_19MoeSortingProblemExIifLi8ELb1ELb0ELb0ELb1ELi0EEEEENS4_5KargsEEEvT0_, .Lfunc_end21-_ZN5aiter22opus_moe_sorting_entryINS_16MoeSortingKernelINS_19MoeSortingProblemExIifLi8ELb1ELb0ELb0ELb1ELi0EEEEENS4_5KargsEEEvT0_
                                        ; -- End function
	.section	.AMDGPU.csdata,"",@progbits
; Kernel info:
; codeLenInByte = 3584
; NumSgprs: 46
; NumVgprs: 29
; ScratchSize: 0
; MemoryBound: 0
; FloatMode: 240
; IeeeMode: 1
; LDSByteSize: 0 bytes/workgroup (compile time only)
; SGPRBlocks: 5
; VGPRBlocks: 3
; NumSGPRsForWavesPerEU: 46
; NumVGPRsForWavesPerEU: 29
; Occupancy: 16
; WaveLimiterHint : 1
; COMPUTE_PGM_RSRC2:SCRATCH_EN: 0
; COMPUTE_PGM_RSRC2:USER_SGPR: 15
; COMPUTE_PGM_RSRC2:TRAP_HANDLER: 0
; COMPUTE_PGM_RSRC2:TGID_X_EN: 1
; COMPUTE_PGM_RSRC2:TGID_Y_EN: 0
; COMPUTE_PGM_RSRC2:TGID_Z_EN: 0
; COMPUTE_PGM_RSRC2:TIDIG_COMP_CNT: 0
	.section	.text._ZN5aiter22opus_moe_sorting_entryINS_16MoeSortingKernelINS_19MoeSortingProblemExIifLi4ELb1ELb0ELb0ELb1ELi0EEEEENS4_5KargsEEEvT0_,"axG",@progbits,_ZN5aiter22opus_moe_sorting_entryINS_16MoeSortingKernelINS_19MoeSortingProblemExIifLi4ELb1ELb0ELb0ELb1ELi0EEEEENS4_5KargsEEEvT0_,comdat
	.protected	_ZN5aiter22opus_moe_sorting_entryINS_16MoeSortingKernelINS_19MoeSortingProblemExIifLi4ELb1ELb0ELb0ELb1ELi0EEEEENS4_5KargsEEEvT0_ ; -- Begin function _ZN5aiter22opus_moe_sorting_entryINS_16MoeSortingKernelINS_19MoeSortingProblemExIifLi4ELb1ELb0ELb0ELb1ELi0EEEEENS4_5KargsEEEvT0_
	.globl	_ZN5aiter22opus_moe_sorting_entryINS_16MoeSortingKernelINS_19MoeSortingProblemExIifLi4ELb1ELb0ELb0ELb1ELi0EEEEENS4_5KargsEEEvT0_
	.p2align	8
	.type	_ZN5aiter22opus_moe_sorting_entryINS_16MoeSortingKernelINS_19MoeSortingProblemExIifLi4ELb1ELb0ELb0ELb1ELi0EEEEENS4_5KargsEEEvT0_,@function
_ZN5aiter22opus_moe_sorting_entryINS_16MoeSortingKernelINS_19MoeSortingProblemExIifLi4ELb1ELb0ELb0ELb1ELi0EEEEENS4_5KargsEEEvT0_: ; @_ZN5aiter22opus_moe_sorting_entryINS_16MoeSortingKernelINS_19MoeSortingProblemExIifLi4ELb1ELb0ELb0ELb1ELi0EEEEENS4_5KargsEEEvT0_
; %bb.0:
	s_clause 0x1
	s_load_b256 s[16:23], s[0:1], 0x20
	s_load_b256 s[4:11], s[0:1], 0x40
	s_cmp_eq_u32 s15, 0
	s_cbranch_scc1 .LBB22_7
; %bb.1:
	s_waitcnt lgkmcnt(0)
	s_cmp_eq_u64 s[4:5], 0
	s_cbranch_scc1 .LBB22_6
; %bb.2:
	s_mul_i32 s2, s10, s8
	s_ashr_i32 s3, s11, 31
	s_mul_hi_u32 s12, s2, s11
	s_mul_i32 s3, s2, s3
	s_mul_hi_i32 s10, s10, s8
	s_add_i32 s3, s12, s3
	s_mul_i32 s10, s10, s11
	s_mul_i32 s2, s2, s11
	s_add_i32 s3, s3, s10
	v_mov_b32_e32 v2, 0
	s_ashr_i32 s10, s3, 31
	s_mov_b32 s13, 0
	s_lshr_b32 s10, s10, 28
	s_delay_alu instid0(SALU_CYCLE_1) | instskip(SKIP_2) | instid1(SALU_CYCLE_1)
	s_add_u32 s2, s2, s10
	s_addc_u32 s3, s3, 0
	s_lshl_b32 s10, s15, 8
	v_add3_u32 v1, v0, s10, 0xffffff00
	s_ashr_i64 s[10:11], s[2:3], 4
	s_mov_b32 s3, exec_lo
	s_delay_alu instid0(VALU_DEP_1)
	v_cmpx_gt_i64_e64 s[10:11], v[1:2]
	s_cbranch_execz .LBB22_5
; %bb.3:
	s_load_b32 s2, s[0:1], 0x90
	v_lshlrev_b64 v[3:4], 4, v[1:2]
	v_dual_mov_b32 v6, v2 :: v_dual_mov_b32 v5, v1
	v_mov_b32_e32 v1, v2
	s_delay_alu instid0(VALU_DEP_3) | instskip(NEXT) | instid1(VALU_DEP_4)
	v_add_co_u32 v7, vcc_lo, s4, v3
	v_add_co_ci_u32_e32 v8, vcc_lo, s5, v4, vcc_lo
	v_mov_b32_e32 v3, v2
	v_mov_b32_e32 v4, v2
	s_waitcnt lgkmcnt(0)
	s_lshl_b32 s2, s2, 8
	s_delay_alu instid0(SALU_CYCLE_1) | instskip(NEXT) | instid1(SALU_CYCLE_1)
	s_add_i32 s12, s2, 0xffffff00
	s_lshl_b64 s[4:5], s[12:13], 4
.LBB22_4:                               ; =>This Inner Loop Header: Depth=1
	v_add_co_u32 v5, vcc_lo, v5, s12
	v_add_co_ci_u32_e32 v6, vcc_lo, 0, v6, vcc_lo
	global_store_b128 v[7:8], v[1:4], off
	v_add_co_u32 v7, s2, v7, s4
	v_cmp_le_i64_e32 vcc_lo, s[10:11], v[5:6]
	v_add_co_ci_u32_e64 v8, s2, s5, v8, s2
	s_or_b32 s13, vcc_lo, s13
	s_delay_alu instid0(SALU_CYCLE_1)
	s_and_not1_b32 exec_lo, exec_lo, s13
	s_cbranch_execnz .LBB22_4
.LBB22_5:
	s_or_b32 exec_lo, exec_lo, s3
.LBB22_6:
	s_cbranch_execz .LBB22_8
	s_branch .LBB22_67
.LBB22_7:
.LBB22_8:
	s_clause 0x1
	s_load_b256 s[24:31], s[0:1], 0x64
	s_load_b64 s[2:3], s[0:1], 0x84
	v_lshrrev_b32_e32 v1, 5, v0
	s_waitcnt lgkmcnt(0)
	s_add_i32 s35, s9, 1
	s_mov_b32 s13, exec_lo
	s_delay_alu instid0(VALU_DEP_1) | instskip(SKIP_1) | instid1(SALU_CYCLE_1)
	v_readfirstlane_b32 s34, v1
	s_add_i32 s33, s24, -2
	s_mul_i32 s12, s33, s9
	s_delay_alu instid0(SALU_CYCLE_1)
	v_cmpx_gt_i32_e64 s12, v0
	s_cbranch_execz .LBB22_11
; %bb.9:
	v_dual_mov_b32 v4, 0 :: v_dual_lshlrev_b32 v3, 2, v0
	s_lshl_b32 s4, s9, 3
	v_mad_u64_u32 v[1:2], null, v0, s2, 0
	s_add_i32 s4, s4, 0
	v_mov_b32_e32 v5, v0
	v_add3_u32 v3, s4, v3, 8
	s_mov_b32 s5, 0
	s_sub_i32 s10, s35, s31
	s_mov_b32 s4, s2
	s_lshl_b32 s14, s10, 2
	s_lshl_b64 s[10:11], s[4:5], 8
	.p2align	6
.LBB22_10:                              ; =>This Inner Loop Header: Depth=1
	v_add_nc_u32_e32 v6, v5, v2
	v_add_nc_u32_e32 v5, 0x100, v5
	v_add_co_u32 v1, vcc_lo, v1, s10
	v_add_co_ci_u32_e32 v2, vcc_lo, s11, v2, vcc_lo
	s_delay_alu instid0(VALU_DEP_4) | instskip(NEXT) | instid1(VALU_DEP_4)
	v_lshrrev_b32_e32 v8, s3, v6
	v_cmp_le_i32_e64 s2, s12, v5
	s_delay_alu instid0(VALU_DEP_2) | instskip(SKIP_1) | instid1(VALU_DEP_3)
	v_mad_u64_u32 v[6:7], null, s14, v8, v[3:4]
	v_add_nc_u32_e32 v3, 0x400, v3
	s_or_b32 s5, s2, s5
	ds_store_b32 v6, v4
	s_and_not1_b32 exec_lo, exec_lo, s5
	s_cbranch_execnz .LBB22_10
.LBB22_11:
	s_or_b32 exec_lo, exec_lo, s13
	s_load_b128 s[12:15], s[0:1], 0x0
	s_cmp_gt_i32 s8, 0
	s_mov_b32 s3, 0
	s_cselect_b32 s11, -1, 0
	s_cmp_lt_i32 s8, 1
	s_mul_i32 s10, s28, s33
	s_waitcnt lgkmcnt(0)
	s_waitcnt_vscnt null, 0x0
	s_barrier
	buffer_gl0_inv
	s_cbranch_scc1 .LBB22_19
; %bb.12:
	v_mad_u64_u32 v[1:2], null, v0, s29, 0
	v_cmp_gt_i32_e32 vcc_lo, s10, v0
	v_mov_b32_e32 v4, 0
	s_lshl_b32 s0, s35, 3
	s_mov_b32 s2, s29
	s_add_i32 s31, s0, 0
	s_sub_i32 s29, 0, s28
	s_lshl_b64 s[4:5], s[2:3], 8
	s_mov_b32 s2, 0
	s_branch .LBB22_14
.LBB22_13:                              ;   in Loop: Header=BB22_14 Depth=1
	s_set_inst_prefetch_distance 0x2
	s_or_b32 exec_lo, exec_lo, s36
	s_add_i32 s2, s2, s33
	s_add_i32 s3, s3, s10
	s_cmp_ge_i32 s2, s8
	s_waitcnt lgkmcnt(0)
	s_barrier
	buffer_gl0_inv
	s_cbranch_scc1 .LBB22_19
.LBB22_14:                              ; =>This Loop Header: Depth=1
                                        ;     Child Loop BB22_17 Depth 2
	s_and_saveexec_b32 s36, vcc_lo
	s_cbranch_execz .LBB22_13
; %bb.15:                               ;   in Loop: Header=BB22_14 Depth=1
	v_dual_mov_b32 v6, v2 :: v_dual_mov_b32 v5, v1
	v_mov_b32_e32 v7, v0
	s_mov_b32 s37, 0
	s_set_inst_prefetch_distance 0x1
	s_branch .LBB22_17
	.p2align	6
.LBB22_16:                              ;   in Loop: Header=BB22_17 Depth=2
	s_or_b32 exec_lo, exec_lo, s1
	v_add_nc_u32_e32 v7, 0x100, v7
	v_add_co_u32 v5, s1, v5, s4
	s_delay_alu instid0(VALU_DEP_1) | instskip(NEXT) | instid1(VALU_DEP_3)
	v_add_co_ci_u32_e64 v6, s1, s5, v6, s1
	v_cmp_le_i32_e64 s0, s10, v7
	s_waitcnt vmcnt(48) lgkmcnt(7)
	s_delay_alu instid0(VALU_DEP_1) | instskip(NEXT) | instid1(SALU_CYCLE_1)
	s_or_b32 s37, s0, s37
	s_and_not1_b32 exec_lo, exec_lo, s37
	s_cbranch_execz .LBB22_13
.LBB22_17:                              ;   Parent Loop BB22_14 Depth=1
                                        ; =>  This Inner Loop Header: Depth=2
	s_delay_alu instid0(VALU_DEP_1) | instskip(SKIP_1) | instid1(VALU_DEP_1)
	v_add_nc_u32_e32 v3, v7, v6
	s_mov_b32 s1, exec_lo
	v_lshrrev_b32_e32 v8, s30, v3
	s_delay_alu instid0(VALU_DEP_1) | instskip(NEXT) | instid1(VALU_DEP_1)
	v_add_nc_u32_e32 v3, s2, v8
	v_cmpx_gt_i32_e64 s8, v3
	s_cbranch_execz .LBB22_16
; %bb.18:                               ;   in Loop: Header=BB22_17 Depth=2
	v_add_nc_u32_e32 v3, s3, v7
	s_delay_alu instid0(VALU_DEP_1) | instskip(NEXT) | instid1(VALU_DEP_1)
	v_lshlrev_b64 v[9:10], 2, v[3:4]
	v_add_co_u32 v9, s0, s12, v9
	s_delay_alu instid0(VALU_DEP_1) | instskip(SKIP_3) | instid1(VALU_DEP_2)
	v_add_co_ci_u32_e64 v10, s0, s13, v10, s0
	global_load_b32 v3, v[9:10], off
	v_mul_lo_u32 v9, v8, s35
	v_mul_lo_u32 v8, s29, v8
	v_lshlrev_b32_e32 v9, 2, v9
	s_delay_alu instid0(VALU_DEP_2) | instskip(SKIP_2) | instid1(VALU_DEP_1)
	v_add3_u32 v8, v7, v8, 1
	s_waitcnt vmcnt(0)
	v_lshlrev_b32_e32 v3, 2, v3
	v_add3_u32 v3, s31, v3, v9
	ds_store_b32 v3, v8
	s_branch .LBB22_16
.LBB22_19:
	s_mov_b32 s0, exec_lo
	v_cmpx_eq_u32_e32 0, v0
	s_cbranch_execz .LBB22_21
; %bb.20:
	v_mov_b32_e32 v1, 0
	ds_store_b32 v1, v1
.LBB22_21:
	s_or_b32 exec_lo, exec_lo, s0
	v_and_b32_e32 v5, 7, v0
	v_lshrrev_b32_e32 v6, 3, v0
	v_mbcnt_lo_u32_b32 v9, -1, 0
	s_mov_b32 s30, 0
	s_delay_alu instid0(VALU_DEP_3) | instskip(NEXT) | instid1(VALU_DEP_3)
	v_mul_lo_u32 v1, s35, v5
	v_cmp_gt_i32_e64 s0, s9, v6
	v_lshlrev_b32_e32 v7, 2, v6
	s_delay_alu instid0(VALU_DEP_3) | instskip(NEXT) | instid1(VALU_DEP_3)
	v_lshlrev_b32_e32 v8, 2, v1
	s_and_saveexec_b32 s29, s0
	s_cbranch_execz .LBB22_29
; %bb.22:
	s_cmp_gt_i32 s24, 2
	s_mul_i32 s2, s9, 0x68
	s_mul_i32 s3, s9, 0x48
	s_cselect_b32 s24, -1, 0
	s_add_i32 s2, s2, 0
	s_add_i32 s3, s3, 0
	v_lshlrev_b32_e32 v3, 2, v9
	v_add3_u32 v4, s2, v8, 0x68
	v_add3_u32 v10, s3, v8, 0x48
	s_mul_i32 s2, s9, 40
	s_lshl_b32 s3, s9, 3
	s_add_i32 s2, s2, 0
	s_add_i32 s3, s3, 0
	v_cmp_eq_u32_e64 s1, 0, v5
	v_xor_b32_e32 v1, 4, v3
	v_xor_b32_e32 v2, 8, v3
	;; [unrolled: 1-line block ×3, first 2 shown]
	v_add3_u32 v11, s2, v8, 40
	v_add3_u32 v12, s3, v8, 8
	v_mov_b32_e32 v13, v6
	s_lshl_b32 s31, s9, 7
	s_delay_alu instid0(SALU_CYCLE_1)
	s_addk_i32 s31, 0x80
	s_branch .LBB22_24
.LBB22_23:                              ;   in Loop: Header=BB22_24 Depth=1
	s_or_b32 exec_lo, exec_lo, s2
	v_add_nc_u32_e32 v13, 32, v13
	v_add_nc_u32_e32 v4, 0x80, v4
	;; [unrolled: 1-line block ×5, first 2 shown]
	v_cmp_le_i32_e32 vcc_lo, s9, v13
	s_or_b32 s30, vcc_lo, s30
	s_delay_alu instid0(SALU_CYCLE_1)
	s_and_not1_b32 exec_lo, exec_lo, s30
	s_cbranch_execz .LBB22_29
.LBB22_24:                              ; =>This Loop Header: Depth=1
                                        ;     Child Loop BB22_26 Depth 2
	v_mov_b32_e32 v14, 0
	s_and_not1_b32 vcc_lo, exec_lo, s24
	s_cbranch_vccnz .LBB22_27
; %bb.25:                               ;   in Loop: Header=BB22_24 Depth=1
	v_dual_mov_b32 v14, 0 :: v_dual_mov_b32 v15, v12
	v_dual_mov_b32 v16, v11 :: v_dual_mov_b32 v17, v10
	v_mov_b32_e32 v18, v4
	s_mov_b32 s35, 0
.LBB22_26:                              ;   Parent Loop BB22_24 Depth=1
                                        ; =>  This Inner Loop Header: Depth=2
	s_delay_alu instid0(VALU_DEP_3) | instskip(NEXT) | instid1(VALU_DEP_3)
	v_add_nc_u32_e32 v19, v15, v7
	v_add_nc_u32_e32 v20, v16, v7
	v_add_nc_u32_e32 v21, v17, v7
	v_add_nc_u32_e32 v22, v18, v7
	v_add_nc_u32_e32 v18, s31, v18
	ds_load_b32 v19, v19
	ds_load_b32 v20, v20
	;; [unrolled: 1-line block ×4, first 2 shown]
	v_add_nc_u32_e32 v17, s31, v17
	v_add_nc_u32_e32 v16, s31, v16
	;; [unrolled: 1-line block ×3, first 2 shown]
	s_add_i32 s35, s35, 32
	s_delay_alu instid0(SALU_CYCLE_1)
	s_cmp_lt_i32 s35, s33
	s_waitcnt lgkmcnt(3)
	v_cmp_ne_u32_e32 vcc_lo, 0, v19
	s_waitcnt lgkmcnt(2)
	v_cmp_ne_u32_e64 s2, 0, v20
	s_waitcnt lgkmcnt(1)
	v_cmp_ne_u32_e64 s3, 0, v21
	;; [unrolled: 2-line block ×3, first 2 shown]
	v_cndmask_b32_e64 v19, 0, 1, vcc_lo
	v_cndmask_b32_e64 v20, 0, 1, s2
	v_cndmask_b32_e64 v21, 0, 1, s3
	s_delay_alu instid0(VALU_DEP_4)
	v_cndmask_b32_e64 v22, 0, 1, s4
	ds_bpermute_b32 v19, v1, v19
	ds_bpermute_b32 v20, v1, v20
	;; [unrolled: 1-line block ×4, first 2 shown]
	s_waitcnt lgkmcnt(3)
	v_add_co_ci_u32_e64 v23, s5, 0, v19, vcc_lo
	s_waitcnt lgkmcnt(2)
	v_add_co_ci_u32_e64 v24, s5, 0, v20, s2
	s_waitcnt lgkmcnt(1)
	v_add_co_ci_u32_e64 v25, s5, 0, v21, s3
	ds_bpermute_b32 v23, v2, v23
	ds_bpermute_b32 v24, v2, v24
	s_waitcnt lgkmcnt(2)
	v_add_co_ci_u32_e64 v26, s5, 0, v22, s4
	ds_bpermute_b32 v25, v2, v25
	ds_bpermute_b32 v26, v2, v26
	s_waitcnt lgkmcnt(3)
	v_add_co_ci_u32_e32 v19, vcc_lo, v23, v19, vcc_lo
	s_waitcnt lgkmcnt(2)
	v_add_co_ci_u32_e64 v20, vcc_lo, v24, v20, s2
	s_waitcnt lgkmcnt(1)
	v_add_co_ci_u32_e64 v21, vcc_lo, v25, v21, s3
	ds_bpermute_b32 v23, v3, v19
	ds_bpermute_b32 v24, v3, v20
	s_waitcnt lgkmcnt(2)
	v_add_co_ci_u32_e64 v22, vcc_lo, v26, v22, s4
	ds_bpermute_b32 v25, v3, v21
	ds_bpermute_b32 v26, v3, v22
	s_waitcnt lgkmcnt(3)
	v_add3_u32 v14, v19, v14, v23
	s_waitcnt lgkmcnt(2)
	s_delay_alu instid0(VALU_DEP_1) | instskip(SKIP_1) | instid1(VALU_DEP_1)
	v_add3_u32 v14, v14, v20, v24
	s_waitcnt lgkmcnt(1)
	v_add3_u32 v14, v14, v21, v25
	s_waitcnt lgkmcnt(0)
	s_delay_alu instid0(VALU_DEP_1)
	v_add3_u32 v14, v14, v22, v26
	s_cbranch_scc1 .LBB22_26
.LBB22_27:                              ;   in Loop: Header=BB22_24 Depth=1
	s_and_saveexec_b32 s2, s1
	s_cbranch_execz .LBB22_23
; %bb.28:                               ;   in Loop: Header=BB22_24 Depth=1
	v_lshl_add_u32 v15, v13, 2, 0
	ds_store_b32 v15, v14 offset:4
	s_branch .LBB22_23
.LBB22_29:
	s_or_b32 exec_lo, exec_lo, s29
	s_cmp_lg_u32 s34, 0
	s_mov_b32 s3, 0
	s_waitcnt lgkmcnt(0)
	s_barrier
	buffer_gl0_inv
	s_cbranch_scc1 .LBB22_38
; %bb.30:
	v_mov_b32_e32 v1, 0
	s_cmp_lt_i32 s9, 1
	s_cbranch_scc1 .LBB22_35
; %bb.31:
	v_lshlrev_b32_e32 v1, 2, v9
	v_cmp_eq_u32_e32 vcc_lo, 0, v9
	v_cmp_lt_u32_e64 s1, 15, v9
	s_add_i32 s4, s25, -1
	s_delay_alu instid0(VALU_DEP_3) | instskip(SKIP_1) | instid1(VALU_DEP_2)
	v_and_b32_e32 v2, 64, v1
	v_add3_u32 v3, v1, 0, 4
	v_add_nc_u32_e32 v2, -4, v2
	s_set_inst_prefetch_distance 0x1
	s_branch .LBB22_33
	.p2align	6
.LBB22_32:                              ;   in Loop: Header=BB22_33 Depth=1
	s_or_b32 exec_lo, exec_lo, s5
	v_add_nc_u32_e32 v3, 0x80, v3
	s_add_i32 s3, s3, 32
	s_waitcnt vmcnt(48) lgkmcnt(7)
	s_cmp_lt_i32 s3, s9
	s_cbranch_scc0 .LBB22_35
.LBB22_33:                              ; =>This Inner Loop Header: Depth=1
	ds_load_b32 v1, v3
	v_cndmask_b32_e64 v4, 0, s3, vcc_lo
	s_mov_b32 s5, exec_lo
	s_delay_alu instid0(VALU_DEP_1) | instskip(SKIP_4) | instid1(VALU_DEP_1)
	v_lshl_add_u32 v4, v4, 2, 0
	s_waitcnt lgkmcnt(0)
	v_add_nc_u32_e32 v10, s4, v1
	ds_load_b32 v1, v4
	v_mul_hi_u32 v4, v10, s26
	v_add_nc_u32_e32 v4, v10, v4
	s_delay_alu instid0(VALU_DEP_1) | instskip(SKIP_1) | instid1(VALU_DEP_1)
	v_lshrrev_b32_e32 v4, s27, v4
	s_waitcnt lgkmcnt(0)
	v_mad_u64_u32 v[10:11], null, v4, s25, v[1:2]
	s_delay_alu instid0(VALU_DEP_1) | instskip(SKIP_1) | instid1(VALU_DEP_2)
	v_add_nc_u32_dpp v1, v10, v10 row_shr:1 row_mask:0xf bank_mask:0xf bound_ctrl:1
	v_add_nc_u32_e32 v10, s3, v9
	v_add_nc_u32_dpp v1, v1, v1 row_shr:2 row_mask:0xf bank_mask:0xf bound_ctrl:1
	s_delay_alu instid0(VALU_DEP_1) | instskip(NEXT) | instid1(VALU_DEP_1)
	v_add_nc_u32_dpp v1, v1, v1 row_shr:4 row_mask:0xf bank_mask:0xf bound_ctrl:1
	v_add_nc_u32_dpp v1, v1, v1 row_shr:8 row_mask:0xf bank_mask:0xf bound_ctrl:1
	ds_bpermute_b32 v4, v2, v1
	s_waitcnt lgkmcnt(0)
	v_cndmask_b32_e64 v4, 0, v4, s1
	s_delay_alu instid0(VALU_DEP_1)
	v_add_nc_u32_e32 v1, v1, v4
	v_cmpx_gt_i32_e64 s9, v10
	s_cbranch_execz .LBB22_32
; %bb.34:                               ;   in Loop: Header=BB22_33 Depth=1
	ds_store_b32 v3, v1
	s_branch .LBB22_32
.LBB22_35:
	s_set_inst_prefetch_distance 0x2
	v_add3_u32 v2, v9, s3, 0xffffffe1
	s_mov_b32 s1, exec_lo
	s_delay_alu instid0(VALU_DEP_1)
	v_cmpx_eq_u32_e64 s9, v2
	s_cbranch_execz .LBB22_37
; %bb.36:
	v_dual_mov_b32 v3, 0 :: v_dual_mov_b32 v2, s8
	global_store_b64 v3, v[1:2], s[22:23]
.LBB22_37:
	s_or_b32 exec_lo, exec_lo, s1
.LBB22_38:
	s_cmp_eq_u64 s[6:7], 0
	s_waitcnt lgkmcnt(0)
	s_waitcnt_vscnt null, 0x0
	s_barrier
	buffer_gl0_inv
	s_cbranch_scc1 .LBB22_43
; %bb.39:
	s_mul_i32 s2, s28, s8
	s_mov_b32 s3, exec_lo
	v_cmpx_gt_i32_e64 s2, v0
	s_cbranch_execz .LBB22_42
; %bb.40:
	v_dual_mov_b32 v10, v0 :: v_dual_lshlrev_b32 v3, 2, v0
	s_mov_b32 s4, 0
	s_delay_alu instid0(VALU_DEP_1) | instskip(NEXT) | instid1(VALU_DEP_1)
	v_add_co_u32 v1, s1, s12, v3
	v_add_co_ci_u32_e64 v2, null, s13, 0, s1
	v_add_co_u32 v3, s1, s6, v3
	s_delay_alu instid0(VALU_DEP_1)
	v_add_co_ci_u32_e64 v4, null, s7, 0, s1
	.p2align	6
.LBB22_41:                              ; =>This Inner Loop Header: Depth=1
	global_load_b32 v11, v[1:2], off
	v_add_nc_u32_e32 v10, 0x100, v10
	v_add_co_u32 v1, vcc_lo, 0x400, v1
	v_add_co_ci_u32_e32 v2, vcc_lo, 0, v2, vcc_lo
	s_delay_alu instid0(VALU_DEP_3) | instskip(SKIP_4) | instid1(VALU_DEP_1)
	v_cmp_le_i32_e32 vcc_lo, s2, v10
	s_or_b32 s4, vcc_lo, s4
	s_waitcnt vmcnt(0)
	global_store_b32 v[3:4], v11, off
	v_add_co_u32 v3, s1, 0x400, v3
	v_add_co_ci_u32_e64 v4, s1, 0, v4, s1
	s_and_not1_b32 exec_lo, exec_lo, s4
	s_cbranch_execnz .LBB22_41
.LBB22_42:
	s_or_b32 exec_lo, exec_lo, s3
	s_waitcnt_vscnt null, 0x0
	s_barrier
	buffer_gl0_inv
.LBB22_43:
	s_lshl_b32 s3, s9, 2
	v_cmp_gt_i32_e64 s1, s9, v0
	s_add_i32 s4, s3, 0
	s_mov_b32 s6, 0
	s_add_i32 s5, s4, 4
	s_delay_alu instid0(VALU_DEP_1)
	s_and_saveexec_b32 s7, s1
	s_cbranch_execz .LBB22_49
; %bb.44:
	v_mov_b32_e32 v2, 0
	v_mov_b32_e32 v10, v0
	s_set_inst_prefetch_distance 0x1
	s_branch .LBB22_46
	.p2align	6
.LBB22_45:                              ;   in Loop: Header=BB22_46 Depth=1
	s_or_b32 exec_lo, exec_lo, s12
	v_add_nc_u32_e32 v10, 0x100, v10
	s_delay_alu instid0(VALU_DEP_1) | instskip(SKIP_1) | instid1(SALU_CYCLE_1)
	v_cmp_le_i32_e32 vcc_lo, s9, v10
	s_or_b32 s6, vcc_lo, s6
	s_and_not1_b32 exec_lo, exec_lo, s6
	s_cbranch_execz .LBB22_49
.LBB22_46:                              ; =>This Loop Header: Depth=1
                                        ;     Child Loop BB22_48 Depth 2
	s_delay_alu instid0(VALU_DEP_1) | instskip(SKIP_1) | instid1(VALU_DEP_1)
	v_lshlrev_b32_e32 v1, 2, v10
	s_mov_b32 s12, exec_lo
	v_add_nc_u32_e32 v3, 0, v1
	v_add_nc_u32_e32 v1, s5, v1
	ds_load_2addr_b32 v[3:4], v3 offset1:1
	s_waitcnt lgkmcnt(0)
	ds_store_b32 v1, v3
	v_cmpx_lt_i32_e64 v3, v4
	s_cbranch_execz .LBB22_45
; %bb.47:                               ;   in Loop: Header=BB22_46 Depth=1
	s_mov_b32 s13, 0
	.p2align	6
.LBB22_48:                              ;   Parent Loop BB22_46 Depth=1
                                        ; =>  This Inner Loop Header: Depth=2
	v_mul_hi_u32 v1, s26, v3
	s_delay_alu instid0(VALU_DEP_1) | instskip(SKIP_1) | instid1(VALU_DEP_2)
	v_add_nc_u32_e32 v1, v3, v1
	v_add_nc_u32_e32 v3, s25, v3
	v_lshrrev_b32_e32 v1, s27, v1
	s_delay_alu instid0(VALU_DEP_2) | instskip(NEXT) | instid1(VALU_DEP_2)
	v_cmp_ge_i32_e32 vcc_lo, v3, v4
	v_lshlrev_b64 v[11:12], 2, v[1:2]
	s_or_b32 s13, vcc_lo, s13
	s_delay_alu instid0(VALU_DEP_1) | instskip(NEXT) | instid1(VALU_DEP_1)
	v_add_co_u32 v11, s2, s20, v11
	v_add_co_ci_u32_e64 v12, s2, s21, v12, s2
	global_store_b32 v[11:12], v10, off
	s_and_not1_b32 exec_lo, exec_lo, s13
	s_cbranch_execnz .LBB22_48
	s_branch .LBB22_45
.LBB22_49:
	s_set_inst_prefetch_distance 0x2
	s_or_b32 exec_lo, exec_lo, s7
	s_add_i32 s2, s4, s3
	s_delay_alu instid0(SALU_CYCLE_1)
	v_dual_mov_b32 v1, s4 :: v_dual_mov_b32 v2, s2
	s_waitcnt lgkmcnt(0)
	s_waitcnt_vscnt null, 0x0
	s_barrier
	buffer_gl0_inv
	ds_load_b32 v1, v1
	s_and_not1_b32 vcc_lo, exec_lo, s11
	s_waitcnt lgkmcnt(0)
	ds_store_b32 v2, v1 offset:4
	s_cbranch_vccnz .LBB22_61
; %bb.50:
	s_add_u32 s6, s16, -4
	s_addc_u32 s7, s17, -1
	s_add_u32 s11, s14, -4
	s_addc_u32 s12, s15, -1
	s_add_u32 s13, s18, -4
	s_addc_u32 s14, s19, -1
	s_lshl_b32 s2, s9, 3
	v_and_b32_e32 v2, 8, v9
	v_add3_u32 v3, v8, s2, v7
	v_mul_lo_u32 v1, s28, v5
	v_cmp_gt_i32_e32 vcc_lo, s33, v5
	s_lshl_b32 s21, s9, 5
	v_cmp_eq_u32_e64 s2, 0, v2
	v_lshl_or_b32 v2, v0, 2, 28
	v_add3_u32 v3, v3, 0, 8
	s_mov_b32 s15, 0
	s_lshl_b32 s20, s28, 3
	s_add_i32 s21, s21, 32
	s_branch .LBB22_52
.LBB22_51:                              ;   in Loop: Header=BB22_52 Depth=1
	s_or_b32 exec_lo, exec_lo, s22
	v_add_nc_u32_e32 v1, s10, v1
	s_add_i32 s15, s15, s33
	s_waitcnt lgkmcnt(0)
	s_waitcnt_vscnt null, 0x0
	s_cmp_ge_i32 s15, s8
	s_barrier
	buffer_gl0_inv
	s_cbranch_scc1 .LBB22_61
.LBB22_52:                              ; =>This Loop Header: Depth=1
                                        ;     Child Loop BB22_56 Depth 2
                                        ;       Child Loop BB22_59 Depth 3
	s_and_saveexec_b32 s22, s0
	s_cbranch_execz .LBB22_51
; %bb.53:                               ;   in Loop: Header=BB22_52 Depth=1
	v_dual_mov_b32 v4, v3 :: v_dual_mov_b32 v7, v6
	s_mov_b32 s23, 0
	s_branch .LBB22_56
.LBB22_54:                              ;   in Loop: Header=BB22_56 Depth=2
	s_or_b32 exec_lo, exec_lo, s25
.LBB22_55:                              ;   in Loop: Header=BB22_56 Depth=2
	s_delay_alu instid0(SALU_CYCLE_1)
	s_or_b32 exec_lo, exec_lo, s24
	v_add_nc_u32_e32 v7, 32, v7
	v_add_nc_u32_e32 v4, 0x80, v4
	s_waitcnt lgkmcnt(0)
	ds_store_b32 v8, v9
	v_cmp_le_i32_e64 s3, s9, v7
	s_delay_alu instid0(VALU_DEP_1) | instskip(NEXT) | instid1(SALU_CYCLE_1)
	s_or_b32 s23, s3, s23
	s_and_not1_b32 exec_lo, exec_lo, s23
	s_cbranch_execz .LBB22_51
.LBB22_56:                              ;   Parent Loop BB22_52 Depth=1
                                        ; =>  This Loop Header: Depth=2
                                        ;       Child Loop BB22_59 Depth 3
	s_delay_alu instid0(VALU_DEP_1)
	v_lshl_add_u32 v8, v7, 2, 0
	ds_load_b32 v9, v8
	s_and_saveexec_b32 s24, vcc_lo
	s_cbranch_execz .LBB22_55
; %bb.57:                               ;   in Loop: Header=BB22_56 Depth=2
	v_dual_mov_b32 v10, v4 :: v_dual_mov_b32 v11, v1
	v_mov_b32_e32 v12, v5
	s_mov_b32 s25, 0
	s_branch .LBB22_59
.LBB22_58:                              ;   in Loop: Header=BB22_59 Depth=3
	s_or_b32 exec_lo, exec_lo, s4
	ds_bpermute_b32 v13, v2, v13
	v_add_nc_u32_e32 v12, 8, v12
	v_add_nc_u32_e32 v11, s20, v11
	;; [unrolled: 1-line block ×3, first 2 shown]
	s_delay_alu instid0(VALU_DEP_3) | instskip(NEXT) | instid1(VALU_DEP_1)
	v_cmp_le_i32_e64 s3, s33, v12
	s_or_b32 s25, s3, s25
	s_waitcnt lgkmcnt(0)
	v_add_nc_u32_e32 v9, v13, v9
	s_and_not1_b32 exec_lo, exec_lo, s25
	s_cbranch_execz .LBB22_54
.LBB22_59:                              ;   Parent Loop BB22_52 Depth=1
                                        ;     Parent Loop BB22_56 Depth=2
                                        ; =>    This Inner Loop Header: Depth=3
	ds_load_b32 v14, v10
	s_waitcnt lgkmcnt(0)
	v_cmp_ne_u32_e64 s3, 0, v14
	s_delay_alu instid0(VALU_DEP_1) | instskip(NEXT) | instid1(VALU_DEP_1)
	v_cndmask_b32_e64 v13, 0, 1, s3
	v_mov_b32_dpp v13, v13 row_shr:1 row_mask:0xf bank_mask:0xf bound_ctrl:1
	s_delay_alu instid0(VALU_DEP_1) | instskip(NEXT) | instid1(VALU_DEP_1)
	v_add_co_ci_u32_e64 v15, s4, 0, v13, s3
	v_mov_b32_dpp v15, v15 row_shr:2 row_mask:0xf bank_mask:0xf bound_ctrl:1
	s_delay_alu instid0(VALU_DEP_1) | instskip(NEXT) | instid1(VALU_DEP_1)
	v_add_co_ci_u32_e64 v13, s4, v15, v13, s3
	v_add_nc_u32_dpp v13, v13, v13 row_shr:4 row_mask:0xf bank_mask:0xf bound_ctrl:1
	s_delay_alu instid0(VALU_DEP_1) | instskip(NEXT) | instid1(VALU_DEP_1)
	v_add_nc_u32_dpp v13, v13, v13 row_shr:8 row_mask:0xf bank_mask:0xf bound_ctrl:1
	v_mov_b32_dpp v15, v13 row_share:7 row_mask:0xf bank_mask:0xf bound_ctrl:1
	s_delay_alu instid0(VALU_DEP_1) | instskip(NEXT) | instid1(VALU_DEP_1)
	v_cndmask_b32_e64 v15, v15, 0, s2
	v_sub_nc_u32_e32 v13, v13, v15
	s_and_saveexec_b32 s4, s3
	s_cbranch_execz .LBB22_58
; %bb.60:                               ;   in Loop: Header=BB22_59 Depth=3
	v_add_nc_u32_e32 v15, v11, v14
	v_add_nc_u32_e32 v17, s15, v12
	s_delay_alu instid0(VALU_DEP_2) | instskip(NEXT) | instid1(VALU_DEP_2)
	v_ashrrev_i32_e32 v16, 31, v15
	v_perm_b32 v17, v14, v17, 0x4020100
	s_delay_alu instid0(VALU_DEP_2) | instskip(NEXT) | instid1(VALU_DEP_2)
	v_lshlrev_b64 v[15:16], 2, v[15:16]
	v_add_nc_u32_e32 v19, 0xff000000, v17
	s_delay_alu instid0(VALU_DEP_2) | instskip(NEXT) | instid1(VALU_DEP_1)
	v_add_co_u32 v15, s3, s11, v15
	v_add_co_ci_u32_e64 v16, s3, s12, v16, s3
	global_load_b32 v18, v[15:16], off
	v_add_nc_u32_e32 v15, v13, v9
	s_delay_alu instid0(VALU_DEP_1) | instskip(NEXT) | instid1(VALU_DEP_1)
	v_ashrrev_i32_e32 v16, 31, v15
	v_lshlrev_b64 v[14:15], 2, v[15:16]
	s_delay_alu instid0(VALU_DEP_1) | instskip(NEXT) | instid1(VALU_DEP_1)
	v_add_co_u32 v16, s3, s6, v14
	v_add_co_ci_u32_e64 v17, s3, s7, v15, s3
	v_add_co_u32 v14, s3, s13, v14
	s_delay_alu instid0(VALU_DEP_1)
	v_add_co_ci_u32_e64 v15, s3, s14, v15, s3
	global_store_b32 v[16:17], v19, off
	s_waitcnt vmcnt(0)
	global_store_b32 v[14:15], v18, off
	s_branch .LBB22_58
.LBB22_61:
	s_and_saveexec_b32 s0, s1
	s_cbranch_execz .LBB22_67
; %bb.62:
	v_mov_b32_e32 v6, 0
	s_and_b32 s0, s8, 0xffffff
	s_lshl_b32 s1, s28, 24
	s_add_i32 s5, s5, 4
	s_or_b32 s1, s1, s0
	s_mov_b32 s2, 0
	s_set_inst_prefetch_distance 0x1
	s_branch .LBB22_64
	.p2align	6
.LBB22_63:                              ;   in Loop: Header=BB22_64 Depth=1
	s_or_b32 exec_lo, exec_lo, s3
	v_add_nc_u32_e32 v0, 0x100, v0
	s_delay_alu instid0(VALU_DEP_1) | instskip(SKIP_1) | instid1(SALU_CYCLE_1)
	v_cmp_le_i32_e32 vcc_lo, s9, v0
	s_or_b32 s2, vcc_lo, s2
	s_and_not1_b32 exec_lo, exec_lo, s2
	s_cbranch_execz .LBB22_67
.LBB22_64:                              ; =>This Loop Header: Depth=1
                                        ;     Child Loop BB22_66 Depth 2
	v_lshlrev_b32_e32 v1, 2, v0
	s_mov_b32 s3, exec_lo
	s_delay_alu instid0(VALU_DEP_1)
	v_add_nc_u32_e32 v2, 0, v1
	v_add_nc_u32_e32 v3, s5, v1
	ds_load_b32 v1, v2
	ds_load_b32 v7, v3
	s_waitcnt lgkmcnt(0)
	v_cmpx_lt_i32_e64 v1, v7
	s_cbranch_execz .LBB22_63
; %bb.65:                               ;   in Loop: Header=BB22_64 Depth=1
	v_ashrrev_i32_e32 v2, 31, v1
	s_mov_b32 s4, 0
	s_delay_alu instid0(VALU_DEP_1) | instskip(NEXT) | instid1(VALU_DEP_1)
	v_lshlrev_b64 v[4:5], 2, v[1:2]
	v_add_co_u32 v2, vcc_lo, s16, v4
	s_delay_alu instid0(VALU_DEP_2)
	v_add_co_ci_u32_e32 v3, vcc_lo, s17, v5, vcc_lo
	v_add_co_u32 v4, vcc_lo, s18, v4
	v_add_co_ci_u32_e32 v5, vcc_lo, s19, v5, vcc_lo
	.p2align	6
.LBB22_66:                              ;   Parent Loop BB22_64 Depth=1
                                        ; =>  This Inner Loop Header: Depth=2
	v_dual_mov_b32 v8, s1 :: v_dual_add_nc_u32 v1, 1, v1
	global_store_b32 v[4:5], v6, off
	v_add_co_u32 v4, vcc_lo, v4, 4
	v_add_co_ci_u32_e32 v5, vcc_lo, 0, v5, vcc_lo
	global_store_b32 v[2:3], v8, off
	v_cmp_ge_i32_e32 vcc_lo, v1, v7
	v_add_co_u32 v2, s0, v2, 4
	s_delay_alu instid0(VALU_DEP_1) | instskip(SKIP_1) | instid1(SALU_CYCLE_1)
	v_add_co_ci_u32_e64 v3, s0, 0, v3, s0
	s_or_b32 s4, vcc_lo, s4
	s_and_not1_b32 exec_lo, exec_lo, s4
	s_cbranch_execnz .LBB22_66
	s_branch .LBB22_63
.LBB22_67:
	s_set_inst_prefetch_distance 0x2
	s_nop 0
	s_sendmsg sendmsg(MSG_DEALLOC_VGPRS)
	s_endpgm
	.section	.rodata,"a",@progbits
	.p2align	6, 0x0
	.amdhsa_kernel _ZN5aiter22opus_moe_sorting_entryINS_16MoeSortingKernelINS_19MoeSortingProblemExIifLi4ELb1ELb0ELb0ELb1ELi0EEEEENS4_5KargsEEEvT0_
		.amdhsa_group_segment_fixed_size 0
		.amdhsa_private_segment_fixed_size 0
		.amdhsa_kernarg_size 400
		.amdhsa_user_sgpr_count 15
		.amdhsa_user_sgpr_dispatch_ptr 0
		.amdhsa_user_sgpr_queue_ptr 0
		.amdhsa_user_sgpr_kernarg_segment_ptr 1
		.amdhsa_user_sgpr_dispatch_id 0
		.amdhsa_user_sgpr_private_segment_size 0
		.amdhsa_wavefront_size32 1
		.amdhsa_uses_dynamic_stack 0
		.amdhsa_enable_private_segment 0
		.amdhsa_system_sgpr_workgroup_id_x 1
		.amdhsa_system_sgpr_workgroup_id_y 0
		.amdhsa_system_sgpr_workgroup_id_z 0
		.amdhsa_system_sgpr_workgroup_info 0
		.amdhsa_system_vgpr_workitem_id 0
		.amdhsa_next_free_vgpr 27
		.amdhsa_next_free_sgpr 38
		.amdhsa_reserve_vcc 1
		.amdhsa_float_round_mode_32 0
		.amdhsa_float_round_mode_16_64 0
		.amdhsa_float_denorm_mode_32 3
		.amdhsa_float_denorm_mode_16_64 3
		.amdhsa_dx10_clamp 1
		.amdhsa_ieee_mode 1
		.amdhsa_fp16_overflow 0
		.amdhsa_workgroup_processor_mode 1
		.amdhsa_memory_ordered 1
		.amdhsa_forward_progress 0
		.amdhsa_shared_vgpr_count 0
		.amdhsa_exception_fp_ieee_invalid_op 0
		.amdhsa_exception_fp_denorm_src 0
		.amdhsa_exception_fp_ieee_div_zero 0
		.amdhsa_exception_fp_ieee_overflow 0
		.amdhsa_exception_fp_ieee_underflow 0
		.amdhsa_exception_fp_ieee_inexact 0
		.amdhsa_exception_int_div_zero 0
	.end_amdhsa_kernel
	.section	.text._ZN5aiter22opus_moe_sorting_entryINS_16MoeSortingKernelINS_19MoeSortingProblemExIifLi4ELb1ELb0ELb0ELb1ELi0EEEEENS4_5KargsEEEvT0_,"axG",@progbits,_ZN5aiter22opus_moe_sorting_entryINS_16MoeSortingKernelINS_19MoeSortingProblemExIifLi4ELb1ELb0ELb0ELb1ELi0EEEEENS4_5KargsEEEvT0_,comdat
.Lfunc_end22:
	.size	_ZN5aiter22opus_moe_sorting_entryINS_16MoeSortingKernelINS_19MoeSortingProblemExIifLi4ELb1ELb0ELb0ELb1ELi0EEEEENS4_5KargsEEEvT0_, .Lfunc_end22-_ZN5aiter22opus_moe_sorting_entryINS_16MoeSortingKernelINS_19MoeSortingProblemExIifLi4ELb1ELb0ELb0ELb1ELi0EEEEENS4_5KargsEEEvT0_
                                        ; -- End function
	.section	.AMDGPU.csdata,"",@progbits
; Kernel info:
; codeLenInByte = 3344
; NumSgprs: 40
; NumVgprs: 27
; ScratchSize: 0
; MemoryBound: 0
; FloatMode: 240
; IeeeMode: 1
; LDSByteSize: 0 bytes/workgroup (compile time only)
; SGPRBlocks: 4
; VGPRBlocks: 3
; NumSGPRsForWavesPerEU: 40
; NumVGPRsForWavesPerEU: 27
; Occupancy: 16
; WaveLimiterHint : 1
; COMPUTE_PGM_RSRC2:SCRATCH_EN: 0
; COMPUTE_PGM_RSRC2:USER_SGPR: 15
; COMPUTE_PGM_RSRC2:TRAP_HANDLER: 0
; COMPUTE_PGM_RSRC2:TGID_X_EN: 1
; COMPUTE_PGM_RSRC2:TGID_Y_EN: 0
; COMPUTE_PGM_RSRC2:TGID_Z_EN: 0
; COMPUTE_PGM_RSRC2:TIDIG_COMP_CNT: 0
	.section	.text._ZN5aiter22opus_moe_sorting_entryINS_16MoeSortingKernelINS_19MoeSortingProblemExIifLi2ELb1ELb0ELb0ELb1ELi0EEEEENS4_5KargsEEEvT0_,"axG",@progbits,_ZN5aiter22opus_moe_sorting_entryINS_16MoeSortingKernelINS_19MoeSortingProblemExIifLi2ELb1ELb0ELb0ELb1ELi0EEEEENS4_5KargsEEEvT0_,comdat
	.protected	_ZN5aiter22opus_moe_sorting_entryINS_16MoeSortingKernelINS_19MoeSortingProblemExIifLi2ELb1ELb0ELb0ELb1ELi0EEEEENS4_5KargsEEEvT0_ ; -- Begin function _ZN5aiter22opus_moe_sorting_entryINS_16MoeSortingKernelINS_19MoeSortingProblemExIifLi2ELb1ELb0ELb0ELb1ELi0EEEEENS4_5KargsEEEvT0_
	.globl	_ZN5aiter22opus_moe_sorting_entryINS_16MoeSortingKernelINS_19MoeSortingProblemExIifLi2ELb1ELb0ELb0ELb1ELi0EEEEENS4_5KargsEEEvT0_
	.p2align	8
	.type	_ZN5aiter22opus_moe_sorting_entryINS_16MoeSortingKernelINS_19MoeSortingProblemExIifLi2ELb1ELb0ELb0ELb1ELi0EEEEENS4_5KargsEEEvT0_,@function
_ZN5aiter22opus_moe_sorting_entryINS_16MoeSortingKernelINS_19MoeSortingProblemExIifLi2ELb1ELb0ELb0ELb1ELi0EEEEENS4_5KargsEEEvT0_: ; @_ZN5aiter22opus_moe_sorting_entryINS_16MoeSortingKernelINS_19MoeSortingProblemExIifLi2ELb1ELb0ELb0ELb1ELi0EEEEENS4_5KargsEEEvT0_
; %bb.0:
	s_clause 0x1
	s_load_b256 s[16:23], s[0:1], 0x20
	s_load_b256 s[4:11], s[0:1], 0x40
	s_cmp_eq_u32 s15, 0
	s_cbranch_scc1 .LBB23_7
; %bb.1:
	s_waitcnt lgkmcnt(0)
	s_cmp_eq_u64 s[4:5], 0
	s_cbranch_scc1 .LBB23_6
; %bb.2:
	s_mul_i32 s2, s10, s8
	s_ashr_i32 s3, s11, 31
	s_mul_hi_u32 s12, s2, s11
	s_mul_i32 s3, s2, s3
	s_mul_hi_i32 s10, s10, s8
	s_add_i32 s3, s12, s3
	s_mul_i32 s10, s10, s11
	s_mul_i32 s2, s2, s11
	s_add_i32 s3, s3, s10
	v_mov_b32_e32 v2, 0
	s_ashr_i32 s10, s3, 31
	s_mov_b32 s13, 0
	s_lshr_b32 s10, s10, 28
	s_delay_alu instid0(SALU_CYCLE_1) | instskip(SKIP_2) | instid1(SALU_CYCLE_1)
	s_add_u32 s2, s2, s10
	s_addc_u32 s3, s3, 0
	s_lshl_b32 s10, s15, 8
	v_add3_u32 v1, v0, s10, 0xffffff00
	s_ashr_i64 s[10:11], s[2:3], 4
	s_mov_b32 s3, exec_lo
	s_delay_alu instid0(VALU_DEP_1)
	v_cmpx_gt_i64_e64 s[10:11], v[1:2]
	s_cbranch_execz .LBB23_5
; %bb.3:
	s_load_b32 s2, s[0:1], 0x90
	v_lshlrev_b64 v[3:4], 4, v[1:2]
	v_dual_mov_b32 v6, v2 :: v_dual_mov_b32 v5, v1
	v_mov_b32_e32 v1, v2
	s_delay_alu instid0(VALU_DEP_3) | instskip(NEXT) | instid1(VALU_DEP_4)
	v_add_co_u32 v7, vcc_lo, s4, v3
	v_add_co_ci_u32_e32 v8, vcc_lo, s5, v4, vcc_lo
	v_mov_b32_e32 v3, v2
	v_mov_b32_e32 v4, v2
	s_waitcnt lgkmcnt(0)
	s_lshl_b32 s2, s2, 8
	s_delay_alu instid0(SALU_CYCLE_1) | instskip(NEXT) | instid1(SALU_CYCLE_1)
	s_add_i32 s12, s2, 0xffffff00
	s_lshl_b64 s[4:5], s[12:13], 4
.LBB23_4:                               ; =>This Inner Loop Header: Depth=1
	v_add_co_u32 v5, vcc_lo, v5, s12
	v_add_co_ci_u32_e32 v6, vcc_lo, 0, v6, vcc_lo
	global_store_b128 v[7:8], v[1:4], off
	v_add_co_u32 v7, s2, v7, s4
	v_cmp_le_i64_e32 vcc_lo, s[10:11], v[5:6]
	v_add_co_ci_u32_e64 v8, s2, s5, v8, s2
	s_or_b32 s13, vcc_lo, s13
	s_delay_alu instid0(SALU_CYCLE_1)
	s_and_not1_b32 exec_lo, exec_lo, s13
	s_cbranch_execnz .LBB23_4
.LBB23_5:
	s_or_b32 exec_lo, exec_lo, s3
.LBB23_6:
	s_cbranch_execz .LBB23_8
	s_branch .LBB23_67
.LBB23_7:
.LBB23_8:
	s_clause 0x1
	s_load_b256 s[24:31], s[0:1], 0x64
	s_load_b64 s[2:3], s[0:1], 0x84
	v_lshrrev_b32_e32 v1, 5, v0
	s_waitcnt lgkmcnt(0)
	s_add_i32 s35, s9, 1
	s_mov_b32 s13, exec_lo
	s_delay_alu instid0(VALU_DEP_1) | instskip(SKIP_1) | instid1(SALU_CYCLE_1)
	v_readfirstlane_b32 s34, v1
	s_add_i32 s33, s24, -2
	s_mul_i32 s12, s33, s9
	s_delay_alu instid0(SALU_CYCLE_1)
	v_cmpx_gt_i32_e64 s12, v0
	s_cbranch_execz .LBB23_11
; %bb.9:
	v_dual_mov_b32 v4, 0 :: v_dual_lshlrev_b32 v3, 2, v0
	s_lshl_b32 s4, s9, 3
	v_mad_u64_u32 v[1:2], null, v0, s2, 0
	s_add_i32 s4, s4, 0
	v_mov_b32_e32 v5, v0
	v_add3_u32 v3, s4, v3, 8
	s_mov_b32 s5, 0
	s_sub_i32 s10, s35, s31
	s_mov_b32 s4, s2
	s_lshl_b32 s14, s10, 2
	s_lshl_b64 s[10:11], s[4:5], 8
	.p2align	6
.LBB23_10:                              ; =>This Inner Loop Header: Depth=1
	v_add_nc_u32_e32 v6, v5, v2
	v_add_nc_u32_e32 v5, 0x100, v5
	v_add_co_u32 v1, vcc_lo, v1, s10
	v_add_co_ci_u32_e32 v2, vcc_lo, s11, v2, vcc_lo
	s_delay_alu instid0(VALU_DEP_4) | instskip(NEXT) | instid1(VALU_DEP_4)
	v_lshrrev_b32_e32 v8, s3, v6
	v_cmp_le_i32_e64 s2, s12, v5
	s_delay_alu instid0(VALU_DEP_2) | instskip(SKIP_1) | instid1(VALU_DEP_3)
	v_mad_u64_u32 v[6:7], null, s14, v8, v[3:4]
	v_add_nc_u32_e32 v3, 0x400, v3
	s_or_b32 s5, s2, s5
	ds_store_b32 v6, v4
	s_and_not1_b32 exec_lo, exec_lo, s5
	s_cbranch_execnz .LBB23_10
.LBB23_11:
	s_or_b32 exec_lo, exec_lo, s13
	s_load_b128 s[12:15], s[0:1], 0x0
	s_cmp_gt_i32 s8, 0
	s_mov_b32 s3, 0
	s_cselect_b32 s11, -1, 0
	s_cmp_lt_i32 s8, 1
	s_mul_i32 s10, s28, s33
	s_waitcnt lgkmcnt(0)
	s_waitcnt_vscnt null, 0x0
	s_barrier
	buffer_gl0_inv
	s_cbranch_scc1 .LBB23_19
; %bb.12:
	v_mad_u64_u32 v[1:2], null, v0, s29, 0
	v_cmp_gt_i32_e32 vcc_lo, s10, v0
	v_mov_b32_e32 v4, 0
	s_lshl_b32 s0, s35, 3
	s_mov_b32 s2, s29
	s_add_i32 s31, s0, 0
	s_sub_i32 s29, 0, s28
	s_lshl_b64 s[4:5], s[2:3], 8
	s_mov_b32 s2, 0
	s_branch .LBB23_14
.LBB23_13:                              ;   in Loop: Header=BB23_14 Depth=1
	s_set_inst_prefetch_distance 0x2
	s_or_b32 exec_lo, exec_lo, s36
	s_add_i32 s2, s2, s33
	s_add_i32 s3, s3, s10
	s_cmp_ge_i32 s2, s8
	s_waitcnt lgkmcnt(0)
	s_barrier
	buffer_gl0_inv
	s_cbranch_scc1 .LBB23_19
.LBB23_14:                              ; =>This Loop Header: Depth=1
                                        ;     Child Loop BB23_17 Depth 2
	s_and_saveexec_b32 s36, vcc_lo
	s_cbranch_execz .LBB23_13
; %bb.15:                               ;   in Loop: Header=BB23_14 Depth=1
	v_dual_mov_b32 v6, v2 :: v_dual_mov_b32 v5, v1
	v_mov_b32_e32 v7, v0
	s_mov_b32 s37, 0
	s_set_inst_prefetch_distance 0x1
	s_branch .LBB23_17
	.p2align	6
.LBB23_16:                              ;   in Loop: Header=BB23_17 Depth=2
	s_or_b32 exec_lo, exec_lo, s1
	v_add_nc_u32_e32 v7, 0x100, v7
	v_add_co_u32 v5, s1, v5, s4
	s_delay_alu instid0(VALU_DEP_1) | instskip(NEXT) | instid1(VALU_DEP_3)
	v_add_co_ci_u32_e64 v6, s1, s5, v6, s1
	v_cmp_le_i32_e64 s0, s10, v7
	s_waitcnt vmcnt(48) lgkmcnt(7)
	s_delay_alu instid0(VALU_DEP_1) | instskip(NEXT) | instid1(SALU_CYCLE_1)
	s_or_b32 s37, s0, s37
	s_and_not1_b32 exec_lo, exec_lo, s37
	s_cbranch_execz .LBB23_13
.LBB23_17:                              ;   Parent Loop BB23_14 Depth=1
                                        ; =>  This Inner Loop Header: Depth=2
	s_delay_alu instid0(VALU_DEP_1) | instskip(SKIP_1) | instid1(VALU_DEP_1)
	v_add_nc_u32_e32 v3, v7, v6
	s_mov_b32 s1, exec_lo
	v_lshrrev_b32_e32 v8, s30, v3
	s_delay_alu instid0(VALU_DEP_1) | instskip(NEXT) | instid1(VALU_DEP_1)
	v_add_nc_u32_e32 v3, s2, v8
	v_cmpx_gt_i32_e64 s8, v3
	s_cbranch_execz .LBB23_16
; %bb.18:                               ;   in Loop: Header=BB23_17 Depth=2
	v_add_nc_u32_e32 v3, s3, v7
	s_delay_alu instid0(VALU_DEP_1) | instskip(NEXT) | instid1(VALU_DEP_1)
	v_lshlrev_b64 v[9:10], 2, v[3:4]
	v_add_co_u32 v9, s0, s12, v9
	s_delay_alu instid0(VALU_DEP_1) | instskip(SKIP_3) | instid1(VALU_DEP_2)
	v_add_co_ci_u32_e64 v10, s0, s13, v10, s0
	global_load_b32 v3, v[9:10], off
	v_mul_lo_u32 v9, v8, s35
	v_mul_lo_u32 v8, s29, v8
	v_lshlrev_b32_e32 v9, 2, v9
	s_delay_alu instid0(VALU_DEP_2) | instskip(SKIP_2) | instid1(VALU_DEP_1)
	v_add3_u32 v8, v7, v8, 1
	s_waitcnt vmcnt(0)
	v_lshlrev_b32_e32 v3, 2, v3
	v_add3_u32 v3, s31, v3, v9
	ds_store_b32 v3, v8
	s_branch .LBB23_16
.LBB23_19:
	s_mov_b32 s0, exec_lo
	v_cmpx_eq_u32_e32 0, v0
	s_cbranch_execz .LBB23_21
; %bb.20:
	v_mov_b32_e32 v1, 0
	ds_store_b32 v1, v1
.LBB23_21:
	s_or_b32 exec_lo, exec_lo, s0
	v_and_b32_e32 v5, 7, v0
	v_lshrrev_b32_e32 v6, 3, v0
	v_mbcnt_lo_u32_b32 v9, -1, 0
	s_mov_b32 s5, 0
	s_delay_alu instid0(VALU_DEP_3) | instskip(NEXT) | instid1(VALU_DEP_3)
	v_mul_lo_u32 v1, s35, v5
	v_cmp_gt_i32_e64 s0, s9, v6
	v_lshlrev_b32_e32 v8, 2, v6
	s_delay_alu instid0(VALU_DEP_3) | instskip(NEXT) | instid1(VALU_DEP_3)
	v_lshlrev_b32_e32 v7, 2, v1
	s_and_saveexec_b32 s4, s0
	s_cbranch_execz .LBB23_29
; %bb.22:
	s_cmp_gt_i32 s24, 2
	s_mul_i32 s1, s9, 40
	s_cselect_b32 s24, -1, 0
	s_lshl_b32 s2, s9, 3
	v_lshlrev_b32_e32 v3, 2, v9
	v_add3_u32 v4, v7, s1, v8
	v_add3_u32 v10, v7, s2, v8
	v_cmp_eq_u32_e64 s1, 0, v5
	v_mov_b32_e32 v11, v6
	v_xor_b32_e32 v1, 4, v3
	v_xor_b32_e32 v2, 8, v3
	;; [unrolled: 1-line block ×3, first 2 shown]
	v_add3_u32 v4, v4, 0, 40
	v_add3_u32 v10, v10, 0, 8
	s_lshl_b32 s29, s9, 6
	s_delay_alu instid0(SALU_CYCLE_1)
	s_add_i32 s29, s29, 64
	s_branch .LBB23_24
.LBB23_23:                              ;   in Loop: Header=BB23_24 Depth=1
	s_or_b32 exec_lo, exec_lo, s2
	v_add_nc_u32_e32 v11, 32, v11
	v_add_nc_u32_e32 v4, 0x80, v4
	;; [unrolled: 1-line block ×3, first 2 shown]
	s_delay_alu instid0(VALU_DEP_3) | instskip(SKIP_1) | instid1(SALU_CYCLE_1)
	v_cmp_le_i32_e32 vcc_lo, s9, v11
	s_or_b32 s5, vcc_lo, s5
	s_and_not1_b32 exec_lo, exec_lo, s5
	s_cbranch_execz .LBB23_29
.LBB23_24:                              ; =>This Loop Header: Depth=1
                                        ;     Child Loop BB23_26 Depth 2
	v_mov_b32_e32 v12, 0
	s_and_not1_b32 vcc_lo, exec_lo, s24
	s_cbranch_vccnz .LBB23_27
; %bb.25:                               ;   in Loop: Header=BB23_24 Depth=1
	v_mov_b32_e32 v12, 0
	s_mov_b32 s30, 0
	s_mov_b32 s31, 0
	s_set_inst_prefetch_distance 0x1
	.p2align	6
.LBB23_26:                              ;   Parent Loop BB23_24 Depth=1
                                        ; =>  This Inner Loop Header: Depth=2
	v_add_nc_u32_e32 v13, s30, v10
	v_add_nc_u32_e32 v14, s30, v4
	s_add_i32 s31, s31, 16
	s_add_i32 s30, s30, s29
	s_cmp_lt_i32 s31, s33
	ds_load_b32 v13, v13
	ds_load_b32 v14, v14
	s_waitcnt lgkmcnt(1)
	v_cmp_ne_u32_e32 vcc_lo, 0, v13
	s_waitcnt lgkmcnt(0)
	v_cmp_ne_u32_e64 s2, 0, v14
	v_cndmask_b32_e64 v13, 0, 1, vcc_lo
	s_delay_alu instid0(VALU_DEP_2)
	v_cndmask_b32_e64 v14, 0, 1, s2
	ds_bpermute_b32 v13, v1, v13
	ds_bpermute_b32 v14, v1, v14
	s_waitcnt lgkmcnt(1)
	v_add_co_ci_u32_e64 v15, s3, 0, v13, vcc_lo
	s_waitcnt lgkmcnt(0)
	v_add_co_ci_u32_e64 v16, s3, 0, v14, s2
	ds_bpermute_b32 v15, v2, v15
	ds_bpermute_b32 v16, v2, v16
	s_waitcnt lgkmcnt(1)
	v_add_co_ci_u32_e32 v13, vcc_lo, v15, v13, vcc_lo
	s_waitcnt lgkmcnt(0)
	v_add_co_ci_u32_e64 v14, vcc_lo, v16, v14, s2
	ds_bpermute_b32 v15, v3, v13
	ds_bpermute_b32 v16, v3, v14
	s_waitcnt lgkmcnt(1)
	v_add3_u32 v12, v13, v12, v15
	s_waitcnt lgkmcnt(0)
	s_delay_alu instid0(VALU_DEP_1)
	v_add3_u32 v12, v12, v14, v16
	s_cbranch_scc1 .LBB23_26
.LBB23_27:                              ;   in Loop: Header=BB23_24 Depth=1
	s_set_inst_prefetch_distance 0x2
	s_and_saveexec_b32 s2, s1
	s_cbranch_execz .LBB23_23
; %bb.28:                               ;   in Loop: Header=BB23_24 Depth=1
	v_lshl_add_u32 v13, v11, 2, 0
	ds_store_b32 v13, v12 offset:4
	s_branch .LBB23_23
.LBB23_29:
	s_or_b32 exec_lo, exec_lo, s4
	s_cmp_lg_u32 s34, 0
	s_mov_b32 s3, 0
	s_waitcnt lgkmcnt(0)
	s_barrier
	buffer_gl0_inv
	s_cbranch_scc1 .LBB23_38
; %bb.30:
	v_mov_b32_e32 v1, 0
	s_cmp_lt_i32 s9, 1
	s_cbranch_scc1 .LBB23_35
; %bb.31:
	v_lshlrev_b32_e32 v1, 2, v9
	v_cmp_eq_u32_e32 vcc_lo, 0, v9
	v_cmp_lt_u32_e64 s1, 15, v9
	s_add_i32 s4, s25, -1
	s_delay_alu instid0(VALU_DEP_3) | instskip(SKIP_1) | instid1(VALU_DEP_2)
	v_and_b32_e32 v2, 64, v1
	v_add3_u32 v3, v1, 0, 4
	v_add_nc_u32_e32 v2, -4, v2
	s_set_inst_prefetch_distance 0x1
	s_branch .LBB23_33
	.p2align	6
.LBB23_32:                              ;   in Loop: Header=BB23_33 Depth=1
	s_or_b32 exec_lo, exec_lo, s5
	v_add_nc_u32_e32 v3, 0x80, v3
	s_add_i32 s3, s3, 32
	s_waitcnt vmcnt(48) lgkmcnt(7)
	s_cmp_lt_i32 s3, s9
	s_cbranch_scc0 .LBB23_35
.LBB23_33:                              ; =>This Inner Loop Header: Depth=1
	ds_load_b32 v1, v3
	v_cndmask_b32_e64 v4, 0, s3, vcc_lo
	s_mov_b32 s5, exec_lo
	s_delay_alu instid0(VALU_DEP_1) | instskip(SKIP_4) | instid1(VALU_DEP_1)
	v_lshl_add_u32 v4, v4, 2, 0
	s_waitcnt lgkmcnt(0)
	v_add_nc_u32_e32 v10, s4, v1
	ds_load_b32 v1, v4
	v_mul_hi_u32 v4, v10, s26
	v_add_nc_u32_e32 v4, v10, v4
	s_delay_alu instid0(VALU_DEP_1) | instskip(SKIP_1) | instid1(VALU_DEP_1)
	v_lshrrev_b32_e32 v4, s27, v4
	s_waitcnt lgkmcnt(0)
	v_mad_u64_u32 v[10:11], null, v4, s25, v[1:2]
	s_delay_alu instid0(VALU_DEP_1) | instskip(SKIP_1) | instid1(VALU_DEP_2)
	v_add_nc_u32_dpp v1, v10, v10 row_shr:1 row_mask:0xf bank_mask:0xf bound_ctrl:1
	v_add_nc_u32_e32 v10, s3, v9
	v_add_nc_u32_dpp v1, v1, v1 row_shr:2 row_mask:0xf bank_mask:0xf bound_ctrl:1
	s_delay_alu instid0(VALU_DEP_1) | instskip(NEXT) | instid1(VALU_DEP_1)
	v_add_nc_u32_dpp v1, v1, v1 row_shr:4 row_mask:0xf bank_mask:0xf bound_ctrl:1
	v_add_nc_u32_dpp v1, v1, v1 row_shr:8 row_mask:0xf bank_mask:0xf bound_ctrl:1
	ds_bpermute_b32 v4, v2, v1
	s_waitcnt lgkmcnt(0)
	v_cndmask_b32_e64 v4, 0, v4, s1
	s_delay_alu instid0(VALU_DEP_1)
	v_add_nc_u32_e32 v1, v1, v4
	v_cmpx_gt_i32_e64 s9, v10
	s_cbranch_execz .LBB23_32
; %bb.34:                               ;   in Loop: Header=BB23_33 Depth=1
	ds_store_b32 v3, v1
	s_branch .LBB23_32
.LBB23_35:
	s_set_inst_prefetch_distance 0x2
	v_add3_u32 v2, v9, s3, 0xffffffe1
	s_mov_b32 s1, exec_lo
	s_delay_alu instid0(VALU_DEP_1)
	v_cmpx_eq_u32_e64 s9, v2
	s_cbranch_execz .LBB23_37
; %bb.36:
	v_dual_mov_b32 v3, 0 :: v_dual_mov_b32 v2, s8
	global_store_b64 v3, v[1:2], s[22:23]
.LBB23_37:
	s_or_b32 exec_lo, exec_lo, s1
.LBB23_38:
	s_cmp_eq_u64 s[6:7], 0
	s_waitcnt lgkmcnt(0)
	s_waitcnt_vscnt null, 0x0
	s_barrier
	buffer_gl0_inv
	s_cbranch_scc1 .LBB23_43
; %bb.39:
	s_mul_i32 s2, s28, s8
	s_mov_b32 s3, exec_lo
	v_cmpx_gt_i32_e64 s2, v0
	s_cbranch_execz .LBB23_42
; %bb.40:
	v_dual_mov_b32 v10, v0 :: v_dual_lshlrev_b32 v3, 2, v0
	s_mov_b32 s4, 0
	s_delay_alu instid0(VALU_DEP_1) | instskip(NEXT) | instid1(VALU_DEP_1)
	v_add_co_u32 v1, s1, s12, v3
	v_add_co_ci_u32_e64 v2, null, s13, 0, s1
	v_add_co_u32 v3, s1, s6, v3
	s_delay_alu instid0(VALU_DEP_1)
	v_add_co_ci_u32_e64 v4, null, s7, 0, s1
	.p2align	6
.LBB23_41:                              ; =>This Inner Loop Header: Depth=1
	global_load_b32 v11, v[1:2], off
	v_add_nc_u32_e32 v10, 0x100, v10
	v_add_co_u32 v1, vcc_lo, 0x400, v1
	v_add_co_ci_u32_e32 v2, vcc_lo, 0, v2, vcc_lo
	s_delay_alu instid0(VALU_DEP_3) | instskip(SKIP_4) | instid1(VALU_DEP_1)
	v_cmp_le_i32_e32 vcc_lo, s2, v10
	s_or_b32 s4, vcc_lo, s4
	s_waitcnt vmcnt(0)
	global_store_b32 v[3:4], v11, off
	v_add_co_u32 v3, s1, 0x400, v3
	v_add_co_ci_u32_e64 v4, s1, 0, v4, s1
	s_and_not1_b32 exec_lo, exec_lo, s4
	s_cbranch_execnz .LBB23_41
.LBB23_42:
	s_or_b32 exec_lo, exec_lo, s3
	s_waitcnt_vscnt null, 0x0
	s_barrier
	buffer_gl0_inv
.LBB23_43:
	s_lshl_b32 s3, s9, 2
	v_cmp_gt_i32_e64 s1, s9, v0
	s_add_i32 s4, s3, 0
	s_mov_b32 s6, 0
	s_add_i32 s5, s4, 4
	s_delay_alu instid0(VALU_DEP_1)
	s_and_saveexec_b32 s7, s1
	s_cbranch_execz .LBB23_49
; %bb.44:
	v_mov_b32_e32 v2, 0
	v_mov_b32_e32 v10, v0
	s_set_inst_prefetch_distance 0x1
	s_branch .LBB23_46
	.p2align	6
.LBB23_45:                              ;   in Loop: Header=BB23_46 Depth=1
	s_or_b32 exec_lo, exec_lo, s12
	v_add_nc_u32_e32 v10, 0x100, v10
	s_delay_alu instid0(VALU_DEP_1) | instskip(SKIP_1) | instid1(SALU_CYCLE_1)
	v_cmp_le_i32_e32 vcc_lo, s9, v10
	s_or_b32 s6, vcc_lo, s6
	s_and_not1_b32 exec_lo, exec_lo, s6
	s_cbranch_execz .LBB23_49
.LBB23_46:                              ; =>This Loop Header: Depth=1
                                        ;     Child Loop BB23_48 Depth 2
	s_delay_alu instid0(VALU_DEP_1) | instskip(SKIP_1) | instid1(VALU_DEP_1)
	v_lshlrev_b32_e32 v1, 2, v10
	s_mov_b32 s12, exec_lo
	v_add_nc_u32_e32 v3, 0, v1
	v_add_nc_u32_e32 v1, s5, v1
	ds_load_2addr_b32 v[3:4], v3 offset1:1
	s_waitcnt lgkmcnt(0)
	ds_store_b32 v1, v3
	v_cmpx_lt_i32_e64 v3, v4
	s_cbranch_execz .LBB23_45
; %bb.47:                               ;   in Loop: Header=BB23_46 Depth=1
	s_mov_b32 s13, 0
	.p2align	6
.LBB23_48:                              ;   Parent Loop BB23_46 Depth=1
                                        ; =>  This Inner Loop Header: Depth=2
	v_mul_hi_u32 v1, s26, v3
	s_delay_alu instid0(VALU_DEP_1) | instskip(SKIP_1) | instid1(VALU_DEP_2)
	v_add_nc_u32_e32 v1, v3, v1
	v_add_nc_u32_e32 v3, s25, v3
	v_lshrrev_b32_e32 v1, s27, v1
	s_delay_alu instid0(VALU_DEP_2) | instskip(NEXT) | instid1(VALU_DEP_2)
	v_cmp_ge_i32_e32 vcc_lo, v3, v4
	v_lshlrev_b64 v[11:12], 2, v[1:2]
	s_or_b32 s13, vcc_lo, s13
	s_delay_alu instid0(VALU_DEP_1) | instskip(NEXT) | instid1(VALU_DEP_1)
	v_add_co_u32 v11, s2, s20, v11
	v_add_co_ci_u32_e64 v12, s2, s21, v12, s2
	global_store_b32 v[11:12], v10, off
	s_and_not1_b32 exec_lo, exec_lo, s13
	s_cbranch_execnz .LBB23_48
	s_branch .LBB23_45
.LBB23_49:
	s_set_inst_prefetch_distance 0x2
	s_or_b32 exec_lo, exec_lo, s7
	s_add_i32 s2, s4, s3
	s_delay_alu instid0(SALU_CYCLE_1)
	v_dual_mov_b32 v1, s4 :: v_dual_mov_b32 v2, s2
	s_waitcnt lgkmcnt(0)
	s_waitcnt_vscnt null, 0x0
	s_barrier
	buffer_gl0_inv
	ds_load_b32 v1, v1
	s_and_not1_b32 vcc_lo, exec_lo, s11
	s_waitcnt lgkmcnt(0)
	ds_store_b32 v2, v1 offset:4
	s_cbranch_vccnz .LBB23_61
; %bb.50:
	s_add_u32 s6, s16, -4
	s_addc_u32 s7, s17, -1
	s_add_u32 s11, s14, -4
	s_addc_u32 s12, s15, -1
	;; [unrolled: 2-line block ×3, first 2 shown]
	s_lshl_b32 s2, s9, 3
	v_and_b32_e32 v2, 8, v9
	v_add3_u32 v3, v7, s2, v8
	v_mul_lo_u32 v1, s28, v5
	v_cmp_gt_i32_e32 vcc_lo, s33, v5
	s_lshl_b32 s21, s9, 5
	v_cmp_eq_u32_e64 s2, 0, v2
	v_lshl_or_b32 v2, v0, 2, 28
	v_add3_u32 v3, v3, 0, 8
	s_mov_b32 s15, 0
	s_lshl_b32 s20, s28, 3
	s_add_i32 s21, s21, 32
	s_branch .LBB23_52
.LBB23_51:                              ;   in Loop: Header=BB23_52 Depth=1
	s_or_b32 exec_lo, exec_lo, s22
	v_add_nc_u32_e32 v1, s10, v1
	s_add_i32 s15, s15, s33
	s_waitcnt lgkmcnt(0)
	s_waitcnt_vscnt null, 0x0
	s_cmp_ge_i32 s15, s8
	s_barrier
	buffer_gl0_inv
	s_cbranch_scc1 .LBB23_61
.LBB23_52:                              ; =>This Loop Header: Depth=1
                                        ;     Child Loop BB23_56 Depth 2
                                        ;       Child Loop BB23_59 Depth 3
	s_and_saveexec_b32 s22, s0
	s_cbranch_execz .LBB23_51
; %bb.53:                               ;   in Loop: Header=BB23_52 Depth=1
	v_dual_mov_b32 v4, v3 :: v_dual_mov_b32 v7, v6
	s_mov_b32 s23, 0
	s_branch .LBB23_56
.LBB23_54:                              ;   in Loop: Header=BB23_56 Depth=2
	s_or_b32 exec_lo, exec_lo, s25
.LBB23_55:                              ;   in Loop: Header=BB23_56 Depth=2
	s_delay_alu instid0(SALU_CYCLE_1)
	s_or_b32 exec_lo, exec_lo, s24
	v_add_nc_u32_e32 v7, 32, v7
	v_add_nc_u32_e32 v4, 0x80, v4
	s_waitcnt lgkmcnt(0)
	ds_store_b32 v8, v9
	v_cmp_le_i32_e64 s3, s9, v7
	s_delay_alu instid0(VALU_DEP_1) | instskip(NEXT) | instid1(SALU_CYCLE_1)
	s_or_b32 s23, s3, s23
	s_and_not1_b32 exec_lo, exec_lo, s23
	s_cbranch_execz .LBB23_51
.LBB23_56:                              ;   Parent Loop BB23_52 Depth=1
                                        ; =>  This Loop Header: Depth=2
                                        ;       Child Loop BB23_59 Depth 3
	s_delay_alu instid0(VALU_DEP_1)
	v_lshl_add_u32 v8, v7, 2, 0
	ds_load_b32 v9, v8
	s_and_saveexec_b32 s24, vcc_lo
	s_cbranch_execz .LBB23_55
; %bb.57:                               ;   in Loop: Header=BB23_56 Depth=2
	v_dual_mov_b32 v10, v4 :: v_dual_mov_b32 v11, v1
	v_mov_b32_e32 v12, v5
	s_mov_b32 s25, 0
	s_branch .LBB23_59
.LBB23_58:                              ;   in Loop: Header=BB23_59 Depth=3
	s_or_b32 exec_lo, exec_lo, s4
	ds_bpermute_b32 v13, v2, v13
	v_add_nc_u32_e32 v12, 8, v12
	v_add_nc_u32_e32 v11, s20, v11
	;; [unrolled: 1-line block ×3, first 2 shown]
	s_delay_alu instid0(VALU_DEP_3) | instskip(NEXT) | instid1(VALU_DEP_1)
	v_cmp_le_i32_e64 s3, s33, v12
	s_or_b32 s25, s3, s25
	s_waitcnt lgkmcnt(0)
	v_add_nc_u32_e32 v9, v13, v9
	s_and_not1_b32 exec_lo, exec_lo, s25
	s_cbranch_execz .LBB23_54
.LBB23_59:                              ;   Parent Loop BB23_52 Depth=1
                                        ;     Parent Loop BB23_56 Depth=2
                                        ; =>    This Inner Loop Header: Depth=3
	ds_load_b32 v14, v10
	s_waitcnt lgkmcnt(0)
	v_cmp_ne_u32_e64 s3, 0, v14
	s_delay_alu instid0(VALU_DEP_1) | instskip(NEXT) | instid1(VALU_DEP_1)
	v_cndmask_b32_e64 v13, 0, 1, s3
	v_mov_b32_dpp v13, v13 row_shr:1 row_mask:0xf bank_mask:0xf bound_ctrl:1
	s_delay_alu instid0(VALU_DEP_1) | instskip(NEXT) | instid1(VALU_DEP_1)
	v_add_co_ci_u32_e64 v15, s4, 0, v13, s3
	v_mov_b32_dpp v15, v15 row_shr:2 row_mask:0xf bank_mask:0xf bound_ctrl:1
	s_delay_alu instid0(VALU_DEP_1) | instskip(NEXT) | instid1(VALU_DEP_1)
	v_add_co_ci_u32_e64 v13, s4, v15, v13, s3
	v_add_nc_u32_dpp v13, v13, v13 row_shr:4 row_mask:0xf bank_mask:0xf bound_ctrl:1
	s_delay_alu instid0(VALU_DEP_1) | instskip(NEXT) | instid1(VALU_DEP_1)
	v_add_nc_u32_dpp v13, v13, v13 row_shr:8 row_mask:0xf bank_mask:0xf bound_ctrl:1
	v_mov_b32_dpp v15, v13 row_share:7 row_mask:0xf bank_mask:0xf bound_ctrl:1
	s_delay_alu instid0(VALU_DEP_1) | instskip(NEXT) | instid1(VALU_DEP_1)
	v_cndmask_b32_e64 v15, v15, 0, s2
	v_sub_nc_u32_e32 v13, v13, v15
	s_and_saveexec_b32 s4, s3
	s_cbranch_execz .LBB23_58
; %bb.60:                               ;   in Loop: Header=BB23_59 Depth=3
	v_add_nc_u32_e32 v15, v11, v14
	v_add_nc_u32_e32 v17, s15, v12
	s_delay_alu instid0(VALU_DEP_2) | instskip(NEXT) | instid1(VALU_DEP_2)
	v_ashrrev_i32_e32 v16, 31, v15
	v_perm_b32 v17, v14, v17, 0x4020100
	s_delay_alu instid0(VALU_DEP_2) | instskip(NEXT) | instid1(VALU_DEP_2)
	v_lshlrev_b64 v[15:16], 2, v[15:16]
	v_add_nc_u32_e32 v19, 0xff000000, v17
	s_delay_alu instid0(VALU_DEP_2) | instskip(NEXT) | instid1(VALU_DEP_1)
	v_add_co_u32 v15, s3, s11, v15
	v_add_co_ci_u32_e64 v16, s3, s12, v16, s3
	global_load_b32 v18, v[15:16], off
	v_add_nc_u32_e32 v15, v13, v9
	s_delay_alu instid0(VALU_DEP_1) | instskip(NEXT) | instid1(VALU_DEP_1)
	v_ashrrev_i32_e32 v16, 31, v15
	v_lshlrev_b64 v[14:15], 2, v[15:16]
	s_delay_alu instid0(VALU_DEP_1) | instskip(NEXT) | instid1(VALU_DEP_1)
	v_add_co_u32 v16, s3, s6, v14
	v_add_co_ci_u32_e64 v17, s3, s7, v15, s3
	v_add_co_u32 v14, s3, s13, v14
	s_delay_alu instid0(VALU_DEP_1)
	v_add_co_ci_u32_e64 v15, s3, s14, v15, s3
	global_store_b32 v[16:17], v19, off
	s_waitcnt vmcnt(0)
	global_store_b32 v[14:15], v18, off
	s_branch .LBB23_58
.LBB23_61:
	s_and_saveexec_b32 s0, s1
	s_cbranch_execz .LBB23_67
; %bb.62:
	v_mov_b32_e32 v6, 0
	s_and_b32 s0, s8, 0xffffff
	s_lshl_b32 s1, s28, 24
	s_add_i32 s5, s5, 4
	s_or_b32 s1, s1, s0
	s_mov_b32 s2, 0
	s_set_inst_prefetch_distance 0x1
	s_branch .LBB23_64
	.p2align	6
.LBB23_63:                              ;   in Loop: Header=BB23_64 Depth=1
	s_or_b32 exec_lo, exec_lo, s3
	v_add_nc_u32_e32 v0, 0x100, v0
	s_delay_alu instid0(VALU_DEP_1) | instskip(SKIP_1) | instid1(SALU_CYCLE_1)
	v_cmp_le_i32_e32 vcc_lo, s9, v0
	s_or_b32 s2, vcc_lo, s2
	s_and_not1_b32 exec_lo, exec_lo, s2
	s_cbranch_execz .LBB23_67
.LBB23_64:                              ; =>This Loop Header: Depth=1
                                        ;     Child Loop BB23_66 Depth 2
	v_lshlrev_b32_e32 v1, 2, v0
	s_mov_b32 s3, exec_lo
	s_delay_alu instid0(VALU_DEP_1)
	v_add_nc_u32_e32 v2, 0, v1
	v_add_nc_u32_e32 v3, s5, v1
	ds_load_b32 v1, v2
	ds_load_b32 v7, v3
	s_waitcnt lgkmcnt(0)
	v_cmpx_lt_i32_e64 v1, v7
	s_cbranch_execz .LBB23_63
; %bb.65:                               ;   in Loop: Header=BB23_64 Depth=1
	v_ashrrev_i32_e32 v2, 31, v1
	s_mov_b32 s4, 0
	s_delay_alu instid0(VALU_DEP_1) | instskip(NEXT) | instid1(VALU_DEP_1)
	v_lshlrev_b64 v[4:5], 2, v[1:2]
	v_add_co_u32 v2, vcc_lo, s16, v4
	s_delay_alu instid0(VALU_DEP_2)
	v_add_co_ci_u32_e32 v3, vcc_lo, s17, v5, vcc_lo
	v_add_co_u32 v4, vcc_lo, s18, v4
	v_add_co_ci_u32_e32 v5, vcc_lo, s19, v5, vcc_lo
	.p2align	6
.LBB23_66:                              ;   Parent Loop BB23_64 Depth=1
                                        ; =>  This Inner Loop Header: Depth=2
	v_dual_mov_b32 v8, s1 :: v_dual_add_nc_u32 v1, 1, v1
	global_store_b32 v[4:5], v6, off
	v_add_co_u32 v4, vcc_lo, v4, 4
	v_add_co_ci_u32_e32 v5, vcc_lo, 0, v5, vcc_lo
	global_store_b32 v[2:3], v8, off
	v_cmp_ge_i32_e32 vcc_lo, v1, v7
	v_add_co_u32 v2, s0, v2, 4
	s_delay_alu instid0(VALU_DEP_1) | instskip(SKIP_1) | instid1(SALU_CYCLE_1)
	v_add_co_ci_u32_e64 v3, s0, 0, v3, s0
	s_or_b32 s4, vcc_lo, s4
	s_and_not1_b32 exec_lo, exec_lo, s4
	s_cbranch_execnz .LBB23_66
	s_branch .LBB23_63
.LBB23_67:
	s_set_inst_prefetch_distance 0x2
	s_nop 0
	s_sendmsg sendmsg(MSG_DEALLOC_VGPRS)
	s_endpgm
	.section	.rodata,"a",@progbits
	.p2align	6, 0x0
	.amdhsa_kernel _ZN5aiter22opus_moe_sorting_entryINS_16MoeSortingKernelINS_19MoeSortingProblemExIifLi2ELb1ELb0ELb0ELb1ELi0EEEEENS4_5KargsEEEvT0_
		.amdhsa_group_segment_fixed_size 0
		.amdhsa_private_segment_fixed_size 0
		.amdhsa_kernarg_size 400
		.amdhsa_user_sgpr_count 15
		.amdhsa_user_sgpr_dispatch_ptr 0
		.amdhsa_user_sgpr_queue_ptr 0
		.amdhsa_user_sgpr_kernarg_segment_ptr 1
		.amdhsa_user_sgpr_dispatch_id 0
		.amdhsa_user_sgpr_private_segment_size 0
		.amdhsa_wavefront_size32 1
		.amdhsa_uses_dynamic_stack 0
		.amdhsa_enable_private_segment 0
		.amdhsa_system_sgpr_workgroup_id_x 1
		.amdhsa_system_sgpr_workgroup_id_y 0
		.amdhsa_system_sgpr_workgroup_id_z 0
		.amdhsa_system_sgpr_workgroup_info 0
		.amdhsa_system_vgpr_workitem_id 0
		.amdhsa_next_free_vgpr 20
		.amdhsa_next_free_sgpr 38
		.amdhsa_reserve_vcc 1
		.amdhsa_float_round_mode_32 0
		.amdhsa_float_round_mode_16_64 0
		.amdhsa_float_denorm_mode_32 3
		.amdhsa_float_denorm_mode_16_64 3
		.amdhsa_dx10_clamp 1
		.amdhsa_ieee_mode 1
		.amdhsa_fp16_overflow 0
		.amdhsa_workgroup_processor_mode 1
		.amdhsa_memory_ordered 1
		.amdhsa_forward_progress 0
		.amdhsa_shared_vgpr_count 0
		.amdhsa_exception_fp_ieee_invalid_op 0
		.amdhsa_exception_fp_denorm_src 0
		.amdhsa_exception_fp_ieee_div_zero 0
		.amdhsa_exception_fp_ieee_overflow 0
		.amdhsa_exception_fp_ieee_underflow 0
		.amdhsa_exception_fp_ieee_inexact 0
		.amdhsa_exception_int_div_zero 0
	.end_amdhsa_kernel
	.section	.text._ZN5aiter22opus_moe_sorting_entryINS_16MoeSortingKernelINS_19MoeSortingProblemExIifLi2ELb1ELb0ELb0ELb1ELi0EEEEENS4_5KargsEEEvT0_,"axG",@progbits,_ZN5aiter22opus_moe_sorting_entryINS_16MoeSortingKernelINS_19MoeSortingProblemExIifLi2ELb1ELb0ELb0ELb1ELi0EEEEENS4_5KargsEEEvT0_,comdat
.Lfunc_end23:
	.size	_ZN5aiter22opus_moe_sorting_entryINS_16MoeSortingKernelINS_19MoeSortingProblemExIifLi2ELb1ELb0ELb0ELb1ELi0EEEEENS4_5KargsEEEvT0_, .Lfunc_end23-_ZN5aiter22opus_moe_sorting_entryINS_16MoeSortingKernelINS_19MoeSortingProblemExIifLi2ELb1ELb0ELb0ELb1ELi0EEEEENS4_5KargsEEEvT0_
                                        ; -- End function
	.section	.AMDGPU.csdata,"",@progbits
; Kernel info:
; codeLenInByte = 3076
; NumSgprs: 40
; NumVgprs: 20
; ScratchSize: 0
; MemoryBound: 0
; FloatMode: 240
; IeeeMode: 1
; LDSByteSize: 0 bytes/workgroup (compile time only)
; SGPRBlocks: 4
; VGPRBlocks: 2
; NumSGPRsForWavesPerEU: 40
; NumVGPRsForWavesPerEU: 20
; Occupancy: 16
; WaveLimiterHint : 1
; COMPUTE_PGM_RSRC2:SCRATCH_EN: 0
; COMPUTE_PGM_RSRC2:USER_SGPR: 15
; COMPUTE_PGM_RSRC2:TRAP_HANDLER: 0
; COMPUTE_PGM_RSRC2:TGID_X_EN: 1
; COMPUTE_PGM_RSRC2:TGID_Y_EN: 0
; COMPUTE_PGM_RSRC2:TGID_Z_EN: 0
; COMPUTE_PGM_RSRC2:TIDIG_COMP_CNT: 0
	.section	.text._ZN5aiter22opus_moe_sorting_entryINS_16MoeSortingKernelINS_19MoeSortingProblemExIifLi1ELb1ELb0ELb0ELb1ELi0EEEEENS4_5KargsEEEvT0_,"axG",@progbits,_ZN5aiter22opus_moe_sorting_entryINS_16MoeSortingKernelINS_19MoeSortingProblemExIifLi1ELb1ELb0ELb0ELb1ELi0EEEEENS4_5KargsEEEvT0_,comdat
	.protected	_ZN5aiter22opus_moe_sorting_entryINS_16MoeSortingKernelINS_19MoeSortingProblemExIifLi1ELb1ELb0ELb0ELb1ELi0EEEEENS4_5KargsEEEvT0_ ; -- Begin function _ZN5aiter22opus_moe_sorting_entryINS_16MoeSortingKernelINS_19MoeSortingProblemExIifLi1ELb1ELb0ELb0ELb1ELi0EEEEENS4_5KargsEEEvT0_
	.globl	_ZN5aiter22opus_moe_sorting_entryINS_16MoeSortingKernelINS_19MoeSortingProblemExIifLi1ELb1ELb0ELb0ELb1ELi0EEEEENS4_5KargsEEEvT0_
	.p2align	8
	.type	_ZN5aiter22opus_moe_sorting_entryINS_16MoeSortingKernelINS_19MoeSortingProblemExIifLi1ELb1ELb0ELb0ELb1ELi0EEEEENS4_5KargsEEEvT0_,@function
_ZN5aiter22opus_moe_sorting_entryINS_16MoeSortingKernelINS_19MoeSortingProblemExIifLi1ELb1ELb0ELb0ELb1ELi0EEEEENS4_5KargsEEEvT0_: ; @_ZN5aiter22opus_moe_sorting_entryINS_16MoeSortingKernelINS_19MoeSortingProblemExIifLi1ELb1ELb0ELb0ELb1ELi0EEEEENS4_5KargsEEEvT0_
; %bb.0:
	s_clause 0x1
	s_load_b256 s[16:23], s[0:1], 0x20
	s_load_b256 s[4:11], s[0:1], 0x40
	s_cmp_eq_u32 s15, 0
	s_cbranch_scc1 .LBB24_7
; %bb.1:
	s_waitcnt lgkmcnt(0)
	s_cmp_eq_u64 s[4:5], 0
	s_cbranch_scc1 .LBB24_6
; %bb.2:
	s_mul_i32 s2, s10, s8
	s_ashr_i32 s3, s11, 31
	s_mul_hi_u32 s12, s2, s11
	s_mul_i32 s3, s2, s3
	s_mul_hi_i32 s10, s10, s8
	s_add_i32 s3, s12, s3
	s_mul_i32 s10, s10, s11
	s_mul_i32 s2, s2, s11
	s_add_i32 s3, s3, s10
	v_mov_b32_e32 v2, 0
	s_ashr_i32 s10, s3, 31
	s_mov_b32 s13, 0
	s_lshr_b32 s10, s10, 28
	s_delay_alu instid0(SALU_CYCLE_1) | instskip(SKIP_2) | instid1(SALU_CYCLE_1)
	s_add_u32 s2, s2, s10
	s_addc_u32 s3, s3, 0
	s_lshl_b32 s10, s15, 8
	v_add3_u32 v1, v0, s10, 0xffffff00
	s_ashr_i64 s[10:11], s[2:3], 4
	s_mov_b32 s3, exec_lo
	s_delay_alu instid0(VALU_DEP_1)
	v_cmpx_gt_i64_e64 s[10:11], v[1:2]
	s_cbranch_execz .LBB24_5
; %bb.3:
	s_load_b32 s2, s[0:1], 0x90
	v_lshlrev_b64 v[3:4], 4, v[1:2]
	v_dual_mov_b32 v6, v2 :: v_dual_mov_b32 v5, v1
	v_mov_b32_e32 v1, v2
	s_delay_alu instid0(VALU_DEP_3) | instskip(NEXT) | instid1(VALU_DEP_4)
	v_add_co_u32 v7, vcc_lo, s4, v3
	v_add_co_ci_u32_e32 v8, vcc_lo, s5, v4, vcc_lo
	v_mov_b32_e32 v3, v2
	v_mov_b32_e32 v4, v2
	s_waitcnt lgkmcnt(0)
	s_lshl_b32 s2, s2, 8
	s_delay_alu instid0(SALU_CYCLE_1) | instskip(NEXT) | instid1(SALU_CYCLE_1)
	s_add_i32 s12, s2, 0xffffff00
	s_lshl_b64 s[4:5], s[12:13], 4
.LBB24_4:                               ; =>This Inner Loop Header: Depth=1
	v_add_co_u32 v5, vcc_lo, v5, s12
	v_add_co_ci_u32_e32 v6, vcc_lo, 0, v6, vcc_lo
	global_store_b128 v[7:8], v[1:4], off
	v_add_co_u32 v7, s2, v7, s4
	v_cmp_le_i64_e32 vcc_lo, s[10:11], v[5:6]
	v_add_co_ci_u32_e64 v8, s2, s5, v8, s2
	s_or_b32 s13, vcc_lo, s13
	s_delay_alu instid0(SALU_CYCLE_1)
	s_and_not1_b32 exec_lo, exec_lo, s13
	s_cbranch_execnz .LBB24_4
.LBB24_5:
	s_or_b32 exec_lo, exec_lo, s3
.LBB24_6:
	s_cbranch_execz .LBB24_8
	s_branch .LBB24_67
.LBB24_7:
.LBB24_8:
	s_clause 0x1
	s_load_b256 s[24:31], s[0:1], 0x64
	s_load_b64 s[2:3], s[0:1], 0x84
	v_lshrrev_b32_e32 v1, 5, v0
	s_waitcnt lgkmcnt(0)
	s_add_i32 s35, s9, 1
	s_mov_b32 s13, exec_lo
	s_delay_alu instid0(VALU_DEP_1) | instskip(SKIP_1) | instid1(SALU_CYCLE_1)
	v_readfirstlane_b32 s34, v1
	s_add_i32 s33, s24, -2
	s_mul_i32 s12, s33, s9
	s_delay_alu instid0(SALU_CYCLE_1)
	v_cmpx_gt_i32_e64 s12, v0
	s_cbranch_execz .LBB24_11
; %bb.9:
	v_dual_mov_b32 v4, 0 :: v_dual_lshlrev_b32 v3, 2, v0
	s_lshl_b32 s4, s9, 3
	v_mad_u64_u32 v[1:2], null, v0, s2, 0
	s_add_i32 s4, s4, 0
	v_mov_b32_e32 v5, v0
	v_add3_u32 v3, s4, v3, 8
	s_mov_b32 s5, 0
	s_sub_i32 s10, s35, s31
	s_mov_b32 s4, s2
	s_lshl_b32 s14, s10, 2
	s_lshl_b64 s[10:11], s[4:5], 8
	.p2align	6
.LBB24_10:                              ; =>This Inner Loop Header: Depth=1
	v_add_nc_u32_e32 v6, v5, v2
	v_add_nc_u32_e32 v5, 0x100, v5
	v_add_co_u32 v1, vcc_lo, v1, s10
	v_add_co_ci_u32_e32 v2, vcc_lo, s11, v2, vcc_lo
	s_delay_alu instid0(VALU_DEP_4) | instskip(NEXT) | instid1(VALU_DEP_4)
	v_lshrrev_b32_e32 v8, s3, v6
	v_cmp_le_i32_e64 s2, s12, v5
	s_delay_alu instid0(VALU_DEP_2) | instskip(SKIP_1) | instid1(VALU_DEP_3)
	v_mad_u64_u32 v[6:7], null, s14, v8, v[3:4]
	v_add_nc_u32_e32 v3, 0x400, v3
	s_or_b32 s5, s2, s5
	ds_store_b32 v6, v4
	s_and_not1_b32 exec_lo, exec_lo, s5
	s_cbranch_execnz .LBB24_10
.LBB24_11:
	s_or_b32 exec_lo, exec_lo, s13
	s_load_b128 s[12:15], s[0:1], 0x0
	s_cmp_gt_i32 s8, 0
	s_mov_b32 s3, 0
	s_cselect_b32 s11, -1, 0
	s_cmp_lt_i32 s8, 1
	s_mul_i32 s10, s28, s33
	s_waitcnt lgkmcnt(0)
	s_waitcnt_vscnt null, 0x0
	s_barrier
	buffer_gl0_inv
	s_cbranch_scc1 .LBB24_19
; %bb.12:
	v_mad_u64_u32 v[1:2], null, v0, s29, 0
	v_cmp_gt_i32_e32 vcc_lo, s10, v0
	v_mov_b32_e32 v4, 0
	s_lshl_b32 s0, s35, 3
	s_mov_b32 s2, s29
	s_add_i32 s31, s0, 0
	s_sub_i32 s29, 0, s28
	s_lshl_b64 s[4:5], s[2:3], 8
	s_mov_b32 s2, 0
	s_branch .LBB24_14
.LBB24_13:                              ;   in Loop: Header=BB24_14 Depth=1
	s_set_inst_prefetch_distance 0x2
	s_or_b32 exec_lo, exec_lo, s36
	s_add_i32 s2, s2, s33
	s_add_i32 s3, s3, s10
	s_cmp_ge_i32 s2, s8
	s_waitcnt lgkmcnt(0)
	s_barrier
	buffer_gl0_inv
	s_cbranch_scc1 .LBB24_19
.LBB24_14:                              ; =>This Loop Header: Depth=1
                                        ;     Child Loop BB24_17 Depth 2
	s_and_saveexec_b32 s36, vcc_lo
	s_cbranch_execz .LBB24_13
; %bb.15:                               ;   in Loop: Header=BB24_14 Depth=1
	v_dual_mov_b32 v6, v2 :: v_dual_mov_b32 v5, v1
	v_mov_b32_e32 v7, v0
	s_mov_b32 s37, 0
	s_set_inst_prefetch_distance 0x1
	s_branch .LBB24_17
	.p2align	6
.LBB24_16:                              ;   in Loop: Header=BB24_17 Depth=2
	s_or_b32 exec_lo, exec_lo, s1
	v_add_nc_u32_e32 v7, 0x100, v7
	v_add_co_u32 v5, s1, v5, s4
	s_delay_alu instid0(VALU_DEP_1) | instskip(NEXT) | instid1(VALU_DEP_3)
	v_add_co_ci_u32_e64 v6, s1, s5, v6, s1
	v_cmp_le_i32_e64 s0, s10, v7
	s_waitcnt vmcnt(48) lgkmcnt(7)
	s_delay_alu instid0(VALU_DEP_1) | instskip(NEXT) | instid1(SALU_CYCLE_1)
	s_or_b32 s37, s0, s37
	s_and_not1_b32 exec_lo, exec_lo, s37
	s_cbranch_execz .LBB24_13
.LBB24_17:                              ;   Parent Loop BB24_14 Depth=1
                                        ; =>  This Inner Loop Header: Depth=2
	s_delay_alu instid0(VALU_DEP_1) | instskip(SKIP_1) | instid1(VALU_DEP_1)
	v_add_nc_u32_e32 v3, v7, v6
	s_mov_b32 s1, exec_lo
	v_lshrrev_b32_e32 v8, s30, v3
	s_delay_alu instid0(VALU_DEP_1) | instskip(NEXT) | instid1(VALU_DEP_1)
	v_add_nc_u32_e32 v3, s2, v8
	v_cmpx_gt_i32_e64 s8, v3
	s_cbranch_execz .LBB24_16
; %bb.18:                               ;   in Loop: Header=BB24_17 Depth=2
	v_add_nc_u32_e32 v3, s3, v7
	s_delay_alu instid0(VALU_DEP_1) | instskip(NEXT) | instid1(VALU_DEP_1)
	v_lshlrev_b64 v[9:10], 2, v[3:4]
	v_add_co_u32 v9, s0, s12, v9
	s_delay_alu instid0(VALU_DEP_1) | instskip(SKIP_3) | instid1(VALU_DEP_2)
	v_add_co_ci_u32_e64 v10, s0, s13, v10, s0
	global_load_b32 v3, v[9:10], off
	v_mul_lo_u32 v9, v8, s35
	v_mul_lo_u32 v8, s29, v8
	v_lshlrev_b32_e32 v9, 2, v9
	s_delay_alu instid0(VALU_DEP_2) | instskip(SKIP_2) | instid1(VALU_DEP_1)
	v_add3_u32 v8, v7, v8, 1
	s_waitcnt vmcnt(0)
	v_lshlrev_b32_e32 v3, 2, v3
	v_add3_u32 v3, s31, v3, v9
	ds_store_b32 v3, v8
	s_branch .LBB24_16
.LBB24_19:
	s_mov_b32 s0, exec_lo
	v_cmpx_eq_u32_e32 0, v0
	s_cbranch_execz .LBB24_21
; %bb.20:
	v_mov_b32_e32 v1, 0
	ds_store_b32 v1, v1
.LBB24_21:
	s_or_b32 exec_lo, exec_lo, s0
	v_and_b32_e32 v5, 7, v0
	v_lshrrev_b32_e32 v6, 3, v0
	v_mbcnt_lo_u32_b32 v9, -1, 0
	s_mov_b32 s4, 0
	s_delay_alu instid0(VALU_DEP_3) | instskip(NEXT) | instid1(VALU_DEP_3)
	v_mul_lo_u32 v1, s35, v5
	v_cmp_gt_i32_e64 s0, s9, v6
	v_lshlrev_b32_e32 v8, 2, v6
	s_delay_alu instid0(VALU_DEP_3) | instskip(NEXT) | instid1(VALU_DEP_3)
	v_lshlrev_b32_e32 v7, 2, v1
	s_and_saveexec_b32 s3, s0
	s_cbranch_execz .LBB24_29
; %bb.22:
	s_cmp_gt_i32 s24, 2
	v_dual_mov_b32 v10, v6 :: v_dual_lshlrev_b32 v3, 2, v9
	s_cselect_b32 s5, -1, 0
	s_lshl_b32 s1, s9, 3
	s_lshl_b32 s24, s9, 5
	v_add3_u32 v4, v7, s1, v8
	v_cmp_eq_u32_e64 s1, 0, v5
	v_xor_b32_e32 v1, 4, v3
	v_xor_b32_e32 v2, 8, v3
	;; [unrolled: 1-line block ×3, first 2 shown]
	v_add3_u32 v4, v4, 0, 8
	s_add_i32 s24, s24, 32
	s_set_inst_prefetch_distance 0x1
	s_branch .LBB24_24
	.p2align	6
.LBB24_23:                              ;   in Loop: Header=BB24_24 Depth=1
	s_or_b32 exec_lo, exec_lo, s2
	v_add_nc_u32_e32 v10, 32, v10
	v_add_nc_u32_e32 v4, 0x80, v4
	s_delay_alu instid0(VALU_DEP_2) | instskip(SKIP_1) | instid1(SALU_CYCLE_1)
	v_cmp_le_i32_e32 vcc_lo, s9, v10
	s_or_b32 s4, vcc_lo, s4
	s_and_not1_b32 exec_lo, exec_lo, s4
	s_cbranch_execz .LBB24_29
.LBB24_24:                              ; =>This Loop Header: Depth=1
                                        ;     Child Loop BB24_26 Depth 2
	v_mov_b32_e32 v11, 0
	s_and_not1_b32 vcc_lo, exec_lo, s5
	s_cbranch_vccnz .LBB24_27
; %bb.25:                               ;   in Loop: Header=BB24_24 Depth=1
	v_dual_mov_b32 v11, 0 :: v_dual_mov_b32 v12, v4
	s_mov_b32 s29, 0
	.p2align	6
.LBB24_26:                              ;   Parent Loop BB24_24 Depth=1
                                        ; =>  This Inner Loop Header: Depth=2
	ds_load_b32 v13, v12
	v_add_nc_u32_e32 v12, s24, v12
	s_add_i32 s29, s29, 8
	s_delay_alu instid0(SALU_CYCLE_1)
	s_cmp_ge_i32 s29, s33
	s_waitcnt lgkmcnt(0)
	v_cmp_ne_u32_e32 vcc_lo, 0, v13
	v_cndmask_b32_e64 v13, 0, 1, vcc_lo
	ds_bpermute_b32 v13, v1, v13
	s_waitcnt lgkmcnt(0)
	v_add_co_ci_u32_e64 v14, s2, 0, v13, vcc_lo
	ds_bpermute_b32 v14, v2, v14
	s_waitcnt lgkmcnt(0)
	v_add_co_ci_u32_e32 v13, vcc_lo, v14, v13, vcc_lo
	ds_bpermute_b32 v14, v3, v13
	s_waitcnt lgkmcnt(0)
	v_add3_u32 v11, v14, v11, v13
	s_cbranch_scc0 .LBB24_26
.LBB24_27:                              ;   in Loop: Header=BB24_24 Depth=1
	s_and_saveexec_b32 s2, s1
	s_cbranch_execz .LBB24_23
; %bb.28:                               ;   in Loop: Header=BB24_24 Depth=1
	v_lshl_add_u32 v12, v10, 2, 0
	ds_store_b32 v12, v11 offset:4
	s_branch .LBB24_23
.LBB24_29:
	s_set_inst_prefetch_distance 0x2
	s_or_b32 exec_lo, exec_lo, s3
	s_cmp_lg_u32 s34, 0
	s_mov_b32 s3, 0
	s_waitcnt lgkmcnt(0)
	s_barrier
	buffer_gl0_inv
	s_cbranch_scc1 .LBB24_38
; %bb.30:
	v_mov_b32_e32 v1, 0
	s_cmp_lt_i32 s9, 1
	s_cbranch_scc1 .LBB24_35
; %bb.31:
	v_lshlrev_b32_e32 v1, 2, v9
	v_cmp_eq_u32_e32 vcc_lo, 0, v9
	v_cmp_lt_u32_e64 s1, 15, v9
	s_add_i32 s4, s25, -1
	s_delay_alu instid0(VALU_DEP_3) | instskip(SKIP_1) | instid1(VALU_DEP_2)
	v_and_b32_e32 v2, 64, v1
	v_add3_u32 v3, v1, 0, 4
	v_add_nc_u32_e32 v2, -4, v2
	s_set_inst_prefetch_distance 0x1
	s_branch .LBB24_33
	.p2align	6
.LBB24_32:                              ;   in Loop: Header=BB24_33 Depth=1
	s_or_b32 exec_lo, exec_lo, s5
	v_add_nc_u32_e32 v3, 0x80, v3
	s_add_i32 s3, s3, 32
	s_waitcnt vmcnt(48) lgkmcnt(7)
	s_cmp_lt_i32 s3, s9
	s_cbranch_scc0 .LBB24_35
.LBB24_33:                              ; =>This Inner Loop Header: Depth=1
	ds_load_b32 v1, v3
	v_cndmask_b32_e64 v4, 0, s3, vcc_lo
	s_mov_b32 s5, exec_lo
	s_delay_alu instid0(VALU_DEP_1) | instskip(SKIP_4) | instid1(VALU_DEP_1)
	v_lshl_add_u32 v4, v4, 2, 0
	s_waitcnt lgkmcnt(0)
	v_add_nc_u32_e32 v10, s4, v1
	ds_load_b32 v1, v4
	v_mul_hi_u32 v4, v10, s26
	v_add_nc_u32_e32 v4, v10, v4
	s_delay_alu instid0(VALU_DEP_1) | instskip(SKIP_1) | instid1(VALU_DEP_1)
	v_lshrrev_b32_e32 v4, s27, v4
	s_waitcnt lgkmcnt(0)
	v_mad_u64_u32 v[10:11], null, v4, s25, v[1:2]
	s_delay_alu instid0(VALU_DEP_1) | instskip(SKIP_1) | instid1(VALU_DEP_2)
	v_add_nc_u32_dpp v1, v10, v10 row_shr:1 row_mask:0xf bank_mask:0xf bound_ctrl:1
	v_add_nc_u32_e32 v10, s3, v9
	v_add_nc_u32_dpp v1, v1, v1 row_shr:2 row_mask:0xf bank_mask:0xf bound_ctrl:1
	s_delay_alu instid0(VALU_DEP_1) | instskip(NEXT) | instid1(VALU_DEP_1)
	v_add_nc_u32_dpp v1, v1, v1 row_shr:4 row_mask:0xf bank_mask:0xf bound_ctrl:1
	v_add_nc_u32_dpp v1, v1, v1 row_shr:8 row_mask:0xf bank_mask:0xf bound_ctrl:1
	ds_bpermute_b32 v4, v2, v1
	s_waitcnt lgkmcnt(0)
	v_cndmask_b32_e64 v4, 0, v4, s1
	s_delay_alu instid0(VALU_DEP_1)
	v_add_nc_u32_e32 v1, v1, v4
	v_cmpx_gt_i32_e64 s9, v10
	s_cbranch_execz .LBB24_32
; %bb.34:                               ;   in Loop: Header=BB24_33 Depth=1
	ds_store_b32 v3, v1
	s_branch .LBB24_32
.LBB24_35:
	s_set_inst_prefetch_distance 0x2
	v_add3_u32 v2, v9, s3, 0xffffffe1
	s_mov_b32 s1, exec_lo
	s_delay_alu instid0(VALU_DEP_1)
	v_cmpx_eq_u32_e64 s9, v2
	s_cbranch_execz .LBB24_37
; %bb.36:
	v_dual_mov_b32 v3, 0 :: v_dual_mov_b32 v2, s8
	global_store_b64 v3, v[1:2], s[22:23]
.LBB24_37:
	s_or_b32 exec_lo, exec_lo, s1
.LBB24_38:
	s_cmp_eq_u64 s[6:7], 0
	s_waitcnt lgkmcnt(0)
	s_waitcnt_vscnt null, 0x0
	s_barrier
	buffer_gl0_inv
	s_cbranch_scc1 .LBB24_43
; %bb.39:
	s_mul_i32 s2, s28, s8
	s_mov_b32 s3, exec_lo
	v_cmpx_gt_i32_e64 s2, v0
	s_cbranch_execz .LBB24_42
; %bb.40:
	v_dual_mov_b32 v10, v0 :: v_dual_lshlrev_b32 v3, 2, v0
	s_mov_b32 s4, 0
	s_delay_alu instid0(VALU_DEP_1) | instskip(NEXT) | instid1(VALU_DEP_1)
	v_add_co_u32 v1, s1, s12, v3
	v_add_co_ci_u32_e64 v2, null, s13, 0, s1
	v_add_co_u32 v3, s1, s6, v3
	s_delay_alu instid0(VALU_DEP_1)
	v_add_co_ci_u32_e64 v4, null, s7, 0, s1
	.p2align	6
.LBB24_41:                              ; =>This Inner Loop Header: Depth=1
	global_load_b32 v11, v[1:2], off
	v_add_nc_u32_e32 v10, 0x100, v10
	v_add_co_u32 v1, vcc_lo, 0x400, v1
	v_add_co_ci_u32_e32 v2, vcc_lo, 0, v2, vcc_lo
	s_delay_alu instid0(VALU_DEP_3) | instskip(SKIP_4) | instid1(VALU_DEP_1)
	v_cmp_le_i32_e32 vcc_lo, s2, v10
	s_or_b32 s4, vcc_lo, s4
	s_waitcnt vmcnt(0)
	global_store_b32 v[3:4], v11, off
	v_add_co_u32 v3, s1, 0x400, v3
	v_add_co_ci_u32_e64 v4, s1, 0, v4, s1
	s_and_not1_b32 exec_lo, exec_lo, s4
	s_cbranch_execnz .LBB24_41
.LBB24_42:
	s_or_b32 exec_lo, exec_lo, s3
	s_waitcnt_vscnt null, 0x0
	s_barrier
	buffer_gl0_inv
.LBB24_43:
	s_lshl_b32 s3, s9, 2
	v_cmp_gt_i32_e64 s1, s9, v0
	s_add_i32 s4, s3, 0
	s_mov_b32 s6, 0
	s_add_i32 s5, s4, 4
	s_delay_alu instid0(VALU_DEP_1)
	s_and_saveexec_b32 s7, s1
	s_cbranch_execz .LBB24_49
; %bb.44:
	v_mov_b32_e32 v2, 0
	v_mov_b32_e32 v10, v0
	s_set_inst_prefetch_distance 0x1
	s_branch .LBB24_46
	.p2align	6
.LBB24_45:                              ;   in Loop: Header=BB24_46 Depth=1
	s_or_b32 exec_lo, exec_lo, s12
	v_add_nc_u32_e32 v10, 0x100, v10
	s_delay_alu instid0(VALU_DEP_1) | instskip(SKIP_1) | instid1(SALU_CYCLE_1)
	v_cmp_le_i32_e32 vcc_lo, s9, v10
	s_or_b32 s6, vcc_lo, s6
	s_and_not1_b32 exec_lo, exec_lo, s6
	s_cbranch_execz .LBB24_49
.LBB24_46:                              ; =>This Loop Header: Depth=1
                                        ;     Child Loop BB24_48 Depth 2
	s_delay_alu instid0(VALU_DEP_1) | instskip(SKIP_1) | instid1(VALU_DEP_1)
	v_lshlrev_b32_e32 v1, 2, v10
	s_mov_b32 s12, exec_lo
	v_add_nc_u32_e32 v3, 0, v1
	v_add_nc_u32_e32 v1, s5, v1
	ds_load_2addr_b32 v[3:4], v3 offset1:1
	s_waitcnt lgkmcnt(0)
	ds_store_b32 v1, v3
	v_cmpx_lt_i32_e64 v3, v4
	s_cbranch_execz .LBB24_45
; %bb.47:                               ;   in Loop: Header=BB24_46 Depth=1
	s_mov_b32 s13, 0
	.p2align	6
.LBB24_48:                              ;   Parent Loop BB24_46 Depth=1
                                        ; =>  This Inner Loop Header: Depth=2
	v_mul_hi_u32 v1, s26, v3
	s_delay_alu instid0(VALU_DEP_1) | instskip(SKIP_1) | instid1(VALU_DEP_2)
	v_add_nc_u32_e32 v1, v3, v1
	v_add_nc_u32_e32 v3, s25, v3
	v_lshrrev_b32_e32 v1, s27, v1
	s_delay_alu instid0(VALU_DEP_2) | instskip(NEXT) | instid1(VALU_DEP_2)
	v_cmp_ge_i32_e32 vcc_lo, v3, v4
	v_lshlrev_b64 v[11:12], 2, v[1:2]
	s_or_b32 s13, vcc_lo, s13
	s_delay_alu instid0(VALU_DEP_1) | instskip(NEXT) | instid1(VALU_DEP_1)
	v_add_co_u32 v11, s2, s20, v11
	v_add_co_ci_u32_e64 v12, s2, s21, v12, s2
	global_store_b32 v[11:12], v10, off
	s_and_not1_b32 exec_lo, exec_lo, s13
	s_cbranch_execnz .LBB24_48
	s_branch .LBB24_45
.LBB24_49:
	s_set_inst_prefetch_distance 0x2
	s_or_b32 exec_lo, exec_lo, s7
	s_add_i32 s2, s4, s3
	s_delay_alu instid0(SALU_CYCLE_1)
	v_dual_mov_b32 v1, s4 :: v_dual_mov_b32 v2, s2
	s_waitcnt lgkmcnt(0)
	s_waitcnt_vscnt null, 0x0
	s_barrier
	buffer_gl0_inv
	ds_load_b32 v1, v1
	s_and_not1_b32 vcc_lo, exec_lo, s11
	s_waitcnt lgkmcnt(0)
	ds_store_b32 v2, v1 offset:4
	s_cbranch_vccnz .LBB24_61
; %bb.50:
	s_add_u32 s6, s16, -4
	s_addc_u32 s7, s17, -1
	s_add_u32 s11, s14, -4
	s_addc_u32 s12, s15, -1
	;; [unrolled: 2-line block ×3, first 2 shown]
	s_lshl_b32 s2, s9, 3
	v_and_b32_e32 v2, 8, v9
	v_add3_u32 v3, v7, s2, v8
	v_mul_lo_u32 v1, s28, v5
	v_cmp_gt_i32_e32 vcc_lo, s33, v5
	s_lshl_b32 s21, s9, 5
	v_cmp_eq_u32_e64 s2, 0, v2
	v_lshl_or_b32 v2, v0, 2, 28
	v_add3_u32 v3, v3, 0, 8
	s_mov_b32 s15, 0
	s_lshl_b32 s20, s28, 3
	s_add_i32 s21, s21, 32
	s_branch .LBB24_52
.LBB24_51:                              ;   in Loop: Header=BB24_52 Depth=1
	s_or_b32 exec_lo, exec_lo, s22
	v_add_nc_u32_e32 v1, s10, v1
	s_add_i32 s15, s15, s33
	s_waitcnt lgkmcnt(0)
	s_waitcnt_vscnt null, 0x0
	s_cmp_ge_i32 s15, s8
	s_barrier
	buffer_gl0_inv
	s_cbranch_scc1 .LBB24_61
.LBB24_52:                              ; =>This Loop Header: Depth=1
                                        ;     Child Loop BB24_56 Depth 2
                                        ;       Child Loop BB24_59 Depth 3
	s_and_saveexec_b32 s22, s0
	s_cbranch_execz .LBB24_51
; %bb.53:                               ;   in Loop: Header=BB24_52 Depth=1
	v_dual_mov_b32 v4, v3 :: v_dual_mov_b32 v7, v6
	s_mov_b32 s23, 0
	s_branch .LBB24_56
.LBB24_54:                              ;   in Loop: Header=BB24_56 Depth=2
	s_or_b32 exec_lo, exec_lo, s25
.LBB24_55:                              ;   in Loop: Header=BB24_56 Depth=2
	s_delay_alu instid0(SALU_CYCLE_1)
	s_or_b32 exec_lo, exec_lo, s24
	v_add_nc_u32_e32 v7, 32, v7
	v_add_nc_u32_e32 v4, 0x80, v4
	s_waitcnt lgkmcnt(0)
	ds_store_b32 v8, v9
	v_cmp_le_i32_e64 s3, s9, v7
	s_delay_alu instid0(VALU_DEP_1) | instskip(NEXT) | instid1(SALU_CYCLE_1)
	s_or_b32 s23, s3, s23
	s_and_not1_b32 exec_lo, exec_lo, s23
	s_cbranch_execz .LBB24_51
.LBB24_56:                              ;   Parent Loop BB24_52 Depth=1
                                        ; =>  This Loop Header: Depth=2
                                        ;       Child Loop BB24_59 Depth 3
	s_delay_alu instid0(VALU_DEP_1)
	v_lshl_add_u32 v8, v7, 2, 0
	ds_load_b32 v9, v8
	s_and_saveexec_b32 s24, vcc_lo
	s_cbranch_execz .LBB24_55
; %bb.57:                               ;   in Loop: Header=BB24_56 Depth=2
	v_dual_mov_b32 v10, v4 :: v_dual_mov_b32 v11, v1
	v_mov_b32_e32 v12, v5
	s_mov_b32 s25, 0
	s_branch .LBB24_59
.LBB24_58:                              ;   in Loop: Header=BB24_59 Depth=3
	s_or_b32 exec_lo, exec_lo, s4
	ds_bpermute_b32 v13, v2, v13
	v_add_nc_u32_e32 v12, 8, v12
	v_add_nc_u32_e32 v11, s20, v11
	;; [unrolled: 1-line block ×3, first 2 shown]
	s_delay_alu instid0(VALU_DEP_3) | instskip(NEXT) | instid1(VALU_DEP_1)
	v_cmp_le_i32_e64 s3, s33, v12
	s_or_b32 s25, s3, s25
	s_waitcnt lgkmcnt(0)
	v_add_nc_u32_e32 v9, v13, v9
	s_and_not1_b32 exec_lo, exec_lo, s25
	s_cbranch_execz .LBB24_54
.LBB24_59:                              ;   Parent Loop BB24_52 Depth=1
                                        ;     Parent Loop BB24_56 Depth=2
                                        ; =>    This Inner Loop Header: Depth=3
	ds_load_b32 v14, v10
	s_waitcnt lgkmcnt(0)
	v_cmp_ne_u32_e64 s3, 0, v14
	s_delay_alu instid0(VALU_DEP_1) | instskip(NEXT) | instid1(VALU_DEP_1)
	v_cndmask_b32_e64 v13, 0, 1, s3
	v_mov_b32_dpp v13, v13 row_shr:1 row_mask:0xf bank_mask:0xf bound_ctrl:1
	s_delay_alu instid0(VALU_DEP_1) | instskip(NEXT) | instid1(VALU_DEP_1)
	v_add_co_ci_u32_e64 v15, s4, 0, v13, s3
	v_mov_b32_dpp v15, v15 row_shr:2 row_mask:0xf bank_mask:0xf bound_ctrl:1
	s_delay_alu instid0(VALU_DEP_1) | instskip(NEXT) | instid1(VALU_DEP_1)
	v_add_co_ci_u32_e64 v13, s4, v15, v13, s3
	v_add_nc_u32_dpp v13, v13, v13 row_shr:4 row_mask:0xf bank_mask:0xf bound_ctrl:1
	s_delay_alu instid0(VALU_DEP_1) | instskip(NEXT) | instid1(VALU_DEP_1)
	v_add_nc_u32_dpp v13, v13, v13 row_shr:8 row_mask:0xf bank_mask:0xf bound_ctrl:1
	v_mov_b32_dpp v15, v13 row_share:7 row_mask:0xf bank_mask:0xf bound_ctrl:1
	s_delay_alu instid0(VALU_DEP_1) | instskip(NEXT) | instid1(VALU_DEP_1)
	v_cndmask_b32_e64 v15, v15, 0, s2
	v_sub_nc_u32_e32 v13, v13, v15
	s_and_saveexec_b32 s4, s3
	s_cbranch_execz .LBB24_58
; %bb.60:                               ;   in Loop: Header=BB24_59 Depth=3
	v_add_nc_u32_e32 v15, v11, v14
	v_add_nc_u32_e32 v17, s15, v12
	s_delay_alu instid0(VALU_DEP_2) | instskip(NEXT) | instid1(VALU_DEP_2)
	v_ashrrev_i32_e32 v16, 31, v15
	v_perm_b32 v17, v14, v17, 0x4020100
	s_delay_alu instid0(VALU_DEP_2) | instskip(NEXT) | instid1(VALU_DEP_2)
	v_lshlrev_b64 v[15:16], 2, v[15:16]
	v_add_nc_u32_e32 v19, 0xff000000, v17
	s_delay_alu instid0(VALU_DEP_2) | instskip(NEXT) | instid1(VALU_DEP_1)
	v_add_co_u32 v15, s3, s11, v15
	v_add_co_ci_u32_e64 v16, s3, s12, v16, s3
	global_load_b32 v18, v[15:16], off
	v_add_nc_u32_e32 v15, v13, v9
	s_delay_alu instid0(VALU_DEP_1) | instskip(NEXT) | instid1(VALU_DEP_1)
	v_ashrrev_i32_e32 v16, 31, v15
	v_lshlrev_b64 v[14:15], 2, v[15:16]
	s_delay_alu instid0(VALU_DEP_1) | instskip(NEXT) | instid1(VALU_DEP_1)
	v_add_co_u32 v16, s3, s6, v14
	v_add_co_ci_u32_e64 v17, s3, s7, v15, s3
	v_add_co_u32 v14, s3, s13, v14
	s_delay_alu instid0(VALU_DEP_1)
	v_add_co_ci_u32_e64 v15, s3, s14, v15, s3
	global_store_b32 v[16:17], v19, off
	s_waitcnt vmcnt(0)
	global_store_b32 v[14:15], v18, off
	s_branch .LBB24_58
.LBB24_61:
	s_and_saveexec_b32 s0, s1
	s_cbranch_execz .LBB24_67
; %bb.62:
	v_mov_b32_e32 v6, 0
	s_and_b32 s0, s8, 0xffffff
	s_lshl_b32 s1, s28, 24
	s_add_i32 s5, s5, 4
	s_or_b32 s1, s1, s0
	s_mov_b32 s2, 0
	s_set_inst_prefetch_distance 0x1
	s_branch .LBB24_64
	.p2align	6
.LBB24_63:                              ;   in Loop: Header=BB24_64 Depth=1
	s_or_b32 exec_lo, exec_lo, s3
	v_add_nc_u32_e32 v0, 0x100, v0
	s_delay_alu instid0(VALU_DEP_1) | instskip(SKIP_1) | instid1(SALU_CYCLE_1)
	v_cmp_le_i32_e32 vcc_lo, s9, v0
	s_or_b32 s2, vcc_lo, s2
	s_and_not1_b32 exec_lo, exec_lo, s2
	s_cbranch_execz .LBB24_67
.LBB24_64:                              ; =>This Loop Header: Depth=1
                                        ;     Child Loop BB24_66 Depth 2
	v_lshlrev_b32_e32 v1, 2, v0
	s_mov_b32 s3, exec_lo
	s_delay_alu instid0(VALU_DEP_1)
	v_add_nc_u32_e32 v2, 0, v1
	v_add_nc_u32_e32 v3, s5, v1
	ds_load_b32 v1, v2
	ds_load_b32 v7, v3
	s_waitcnt lgkmcnt(0)
	v_cmpx_lt_i32_e64 v1, v7
	s_cbranch_execz .LBB24_63
; %bb.65:                               ;   in Loop: Header=BB24_64 Depth=1
	v_ashrrev_i32_e32 v2, 31, v1
	s_mov_b32 s4, 0
	s_delay_alu instid0(VALU_DEP_1) | instskip(NEXT) | instid1(VALU_DEP_1)
	v_lshlrev_b64 v[4:5], 2, v[1:2]
	v_add_co_u32 v2, vcc_lo, s16, v4
	s_delay_alu instid0(VALU_DEP_2)
	v_add_co_ci_u32_e32 v3, vcc_lo, s17, v5, vcc_lo
	v_add_co_u32 v4, vcc_lo, s18, v4
	v_add_co_ci_u32_e32 v5, vcc_lo, s19, v5, vcc_lo
	.p2align	6
.LBB24_66:                              ;   Parent Loop BB24_64 Depth=1
                                        ; =>  This Inner Loop Header: Depth=2
	v_dual_mov_b32 v8, s1 :: v_dual_add_nc_u32 v1, 1, v1
	global_store_b32 v[4:5], v6, off
	v_add_co_u32 v4, vcc_lo, v4, 4
	v_add_co_ci_u32_e32 v5, vcc_lo, 0, v5, vcc_lo
	global_store_b32 v[2:3], v8, off
	v_cmp_ge_i32_e32 vcc_lo, v1, v7
	v_add_co_u32 v2, s0, v2, 4
	s_delay_alu instid0(VALU_DEP_1) | instskip(SKIP_1) | instid1(SALU_CYCLE_1)
	v_add_co_ci_u32_e64 v3, s0, 0, v3, s0
	s_or_b32 s4, vcc_lo, s4
	s_and_not1_b32 exec_lo, exec_lo, s4
	s_cbranch_execnz .LBB24_66
	s_branch .LBB24_63
.LBB24_67:
	s_set_inst_prefetch_distance 0x2
	s_nop 0
	s_sendmsg sendmsg(MSG_DEALLOC_VGPRS)
	s_endpgm
	.section	.rodata,"a",@progbits
	.p2align	6, 0x0
	.amdhsa_kernel _ZN5aiter22opus_moe_sorting_entryINS_16MoeSortingKernelINS_19MoeSortingProblemExIifLi1ELb1ELb0ELb0ELb1ELi0EEEEENS4_5KargsEEEvT0_
		.amdhsa_group_segment_fixed_size 0
		.amdhsa_private_segment_fixed_size 0
		.amdhsa_kernarg_size 400
		.amdhsa_user_sgpr_count 15
		.amdhsa_user_sgpr_dispatch_ptr 0
		.amdhsa_user_sgpr_queue_ptr 0
		.amdhsa_user_sgpr_kernarg_segment_ptr 1
		.amdhsa_user_sgpr_dispatch_id 0
		.amdhsa_user_sgpr_private_segment_size 0
		.amdhsa_wavefront_size32 1
		.amdhsa_uses_dynamic_stack 0
		.amdhsa_enable_private_segment 0
		.amdhsa_system_sgpr_workgroup_id_x 1
		.amdhsa_system_sgpr_workgroup_id_y 0
		.amdhsa_system_sgpr_workgroup_id_z 0
		.amdhsa_system_sgpr_workgroup_info 0
		.amdhsa_system_vgpr_workitem_id 0
		.amdhsa_next_free_vgpr 20
		.amdhsa_next_free_sgpr 38
		.amdhsa_reserve_vcc 1
		.amdhsa_float_round_mode_32 0
		.amdhsa_float_round_mode_16_64 0
		.amdhsa_float_denorm_mode_32 3
		.amdhsa_float_denorm_mode_16_64 3
		.amdhsa_dx10_clamp 1
		.amdhsa_ieee_mode 1
		.amdhsa_fp16_overflow 0
		.amdhsa_workgroup_processor_mode 1
		.amdhsa_memory_ordered 1
		.amdhsa_forward_progress 0
		.amdhsa_shared_vgpr_count 0
		.amdhsa_exception_fp_ieee_invalid_op 0
		.amdhsa_exception_fp_denorm_src 0
		.amdhsa_exception_fp_ieee_div_zero 0
		.amdhsa_exception_fp_ieee_overflow 0
		.amdhsa_exception_fp_ieee_underflow 0
		.amdhsa_exception_fp_ieee_inexact 0
		.amdhsa_exception_int_div_zero 0
	.end_amdhsa_kernel
	.section	.text._ZN5aiter22opus_moe_sorting_entryINS_16MoeSortingKernelINS_19MoeSortingProblemExIifLi1ELb1ELb0ELb0ELb1ELi0EEEEENS4_5KargsEEEvT0_,"axG",@progbits,_ZN5aiter22opus_moe_sorting_entryINS_16MoeSortingKernelINS_19MoeSortingProblemExIifLi1ELb1ELb0ELb0ELb1ELi0EEEEENS4_5KargsEEEvT0_,comdat
.Lfunc_end24:
	.size	_ZN5aiter22opus_moe_sorting_entryINS_16MoeSortingKernelINS_19MoeSortingProblemExIifLi1ELb1ELb0ELb0ELb1ELi0EEEEENS4_5KargsEEEvT0_, .Lfunc_end24-_ZN5aiter22opus_moe_sorting_entryINS_16MoeSortingKernelINS_19MoeSortingProblemExIifLi1ELb1ELb0ELb0ELb1ELi0EEEEENS4_5KargsEEEvT0_
                                        ; -- End function
	.section	.AMDGPU.csdata,"",@progbits
; Kernel info:
; codeLenInByte = 2944
; NumSgprs: 40
; NumVgprs: 20
; ScratchSize: 0
; MemoryBound: 0
; FloatMode: 240
; IeeeMode: 1
; LDSByteSize: 0 bytes/workgroup (compile time only)
; SGPRBlocks: 4
; VGPRBlocks: 2
; NumSGPRsForWavesPerEU: 40
; NumVGPRsForWavesPerEU: 20
; Occupancy: 16
; WaveLimiterHint : 1
; COMPUTE_PGM_RSRC2:SCRATCH_EN: 0
; COMPUTE_PGM_RSRC2:USER_SGPR: 15
; COMPUTE_PGM_RSRC2:TRAP_HANDLER: 0
; COMPUTE_PGM_RSRC2:TGID_X_EN: 1
; COMPUTE_PGM_RSRC2:TGID_Y_EN: 0
; COMPUTE_PGM_RSRC2:TGID_Z_EN: 0
; COMPUTE_PGM_RSRC2:TIDIG_COMP_CNT: 0
	.section	.text._ZN5aiter22opus_moe_sorting_entryINS_16MoeSortingKernelINS_19MoeSortingProblemExIifLi8ELb0ELb0ELb1ELb1ELi0EEEEENS4_5KargsEEEvT0_,"axG",@progbits,_ZN5aiter22opus_moe_sorting_entryINS_16MoeSortingKernelINS_19MoeSortingProblemExIifLi8ELb0ELb0ELb1ELb1ELi0EEEEENS4_5KargsEEEvT0_,comdat
	.protected	_ZN5aiter22opus_moe_sorting_entryINS_16MoeSortingKernelINS_19MoeSortingProblemExIifLi8ELb0ELb0ELb1ELb1ELi0EEEEENS4_5KargsEEEvT0_ ; -- Begin function _ZN5aiter22opus_moe_sorting_entryINS_16MoeSortingKernelINS_19MoeSortingProblemExIifLi8ELb0ELb0ELb1ELb1ELi0EEEEENS4_5KargsEEEvT0_
	.globl	_ZN5aiter22opus_moe_sorting_entryINS_16MoeSortingKernelINS_19MoeSortingProblemExIifLi8ELb0ELb0ELb1ELb1ELi0EEEEENS4_5KargsEEEvT0_
	.p2align	8
	.type	_ZN5aiter22opus_moe_sorting_entryINS_16MoeSortingKernelINS_19MoeSortingProblemExIifLi8ELb0ELb0ELb1ELb1ELi0EEEEENS4_5KargsEEEvT0_,@function
_ZN5aiter22opus_moe_sorting_entryINS_16MoeSortingKernelINS_19MoeSortingProblemExIifLi8ELb0ELb0ELb1ELb1ELi0EEEEENS4_5KargsEEEvT0_: ; @_ZN5aiter22opus_moe_sorting_entryINS_16MoeSortingKernelINS_19MoeSortingProblemExIifLi8ELb0ELb0ELb1ELb1ELi0EEEEENS4_5KargsEEEvT0_
; %bb.0:
	s_clause 0x3
	s_load_b256 s[16:23], s[0:1], 0x18
	s_load_b128 s[28:31], s[0:1], 0x38
	s_load_b64 s[34:35], s[0:1], 0x48
	s_load_b128 s[24:27], s[0:1], 0x54
	s_cmp_eq_u32 s15, 0
	s_waitcnt lgkmcnt(0)
	s_load_b32 s33, s[16:17], 0x0
	s_cbranch_scc1 .LBB25_7
; %bb.1:
	s_cmp_eq_u64 s[30:31], 0
	s_cbranch_scc1 .LBB25_6
; %bb.2:
	s_waitcnt lgkmcnt(0)
	s_ashr_i32 s2, s33, 31
	s_mul_i32 s3, s26, s25
	s_mul_hi_i32 s5, s26, s25
	s_mul_i32 s2, s3, s2
	s_mul_hi_u32 s4, s3, s33
	s_mul_i32 s5, s5, s33
	s_add_i32 s2, s4, s2
	s_mul_i32 s3, s3, s33
	s_add_i32 s4, s2, s5
	v_mov_b32_e32 v2, 0
	s_ashr_i32 s2, s4, 31
	s_mov_b32 s7, 0
	s_lshr_b32 s2, s2, 28
	s_delay_alu instid0(SALU_CYCLE_1) | instskip(SKIP_2) | instid1(SALU_CYCLE_1)
	s_add_u32 s2, s3, s2
	s_addc_u32 s3, s4, 0
	s_lshl_b32 s4, s15, 8
	v_add3_u32 v1, v0, s4, 0xffffff00
	s_ashr_i64 s[4:5], s[2:3], 4
	s_mov_b32 s3, exec_lo
	s_delay_alu instid0(VALU_DEP_1)
	v_cmpx_gt_i64_e64 s[4:5], v[1:2]
	s_cbranch_execz .LBB25_5
; %bb.3:
	s_load_b32 s2, s[0:1], 0x90
	v_lshlrev_b64 v[3:4], 4, v[1:2]
	v_dual_mov_b32 v6, v2 :: v_dual_mov_b32 v5, v1
	v_mov_b32_e32 v1, v2
	s_delay_alu instid0(VALU_DEP_3) | instskip(NEXT) | instid1(VALU_DEP_4)
	v_add_co_u32 v7, vcc_lo, s30, v3
	v_add_co_ci_u32_e32 v8, vcc_lo, s31, v4, vcc_lo
	v_mov_b32_e32 v3, v2
	v_mov_b32_e32 v4, v2
	s_waitcnt lgkmcnt(0)
	s_lshl_b32 s2, s2, 8
	s_delay_alu instid0(SALU_CYCLE_1) | instskip(NEXT) | instid1(SALU_CYCLE_1)
	s_add_i32 s6, s2, 0xffffff00
	s_lshl_b64 s[8:9], s[6:7], 4
.LBB25_4:                               ; =>This Inner Loop Header: Depth=1
	v_add_co_u32 v5, vcc_lo, v5, s6
	v_add_co_ci_u32_e32 v6, vcc_lo, 0, v6, vcc_lo
	global_store_b128 v[7:8], v[1:4], off
	v_add_co_u32 v7, s2, v7, s8
	v_cmp_le_i64_e32 vcc_lo, s[4:5], v[5:6]
	v_add_co_ci_u32_e64 v8, s2, s9, v8, s2
	s_or_b32 s7, vcc_lo, s7
	s_delay_alu instid0(SALU_CYCLE_1)
	s_and_not1_b32 exec_lo, exec_lo, s7
	s_cbranch_execnz .LBB25_4
.LBB25_5:
	s_or_b32 exec_lo, exec_lo, s3
.LBB25_6:
	s_cbranch_execz .LBB25_8
	s_branch .LBB25_75
.LBB25_7:
.LBB25_8:
	s_clause 0x1
	s_load_b256 s[4:11], s[0:1], 0x64
	s_load_b64 s[16:17], s[0:1], 0x84
	v_lshrrev_b32_e32 v1, 5, v0
	v_lshlrev_b32_e32 v7, 2, v0
	s_add_i32 s37, s24, 1
	s_delay_alu instid0(VALU_DEP_2) | instskip(SKIP_2) | instid1(SALU_CYCLE_1)
	v_readfirstlane_b32 s41, v1
	s_waitcnt lgkmcnt(0)
	s_add_i32 s25, s4, -2
	s_mul_i32 s36, s25, s24
	s_delay_alu instid0(SALU_CYCLE_1) | instskip(NEXT) | instid1(VALU_DEP_1)
	v_cmp_gt_i32_e64 s2, s36, v0
	s_and_saveexec_b32 s26, s2
	s_cbranch_execz .LBB25_11
; %bb.9:
	s_lshl_b32 s3, s24, 3
	v_mad_u64_u32 v[1:2], null, v0, s16, 0
	s_add_i32 s3, s3, 0
	v_dual_mov_b32 v4, 0 :: v_dual_mov_b32 v5, v0
	v_add3_u32 v3, s3, v7, 8
	s_mov_b32 s13, 0
	s_sub_i32 s14, s37, s11
	s_mov_b32 s12, s16
	s_lshl_b32 s27, s14, 2
	s_lshl_b64 s[14:15], s[12:13], 8
	.p2align	6
.LBB25_10:                              ; =>This Inner Loop Header: Depth=1
	v_add_nc_u32_e32 v6, v5, v2
	v_add_nc_u32_e32 v5, 0x100, v5
	v_add_co_u32 v1, vcc_lo, v1, s14
	v_add_co_ci_u32_e32 v2, vcc_lo, s15, v2, vcc_lo
	s_delay_alu instid0(VALU_DEP_4) | instskip(NEXT) | instid1(VALU_DEP_4)
	v_lshrrev_b32_e32 v6, s17, v6
	v_cmp_le_i32_e64 s3, s36, v5
	s_delay_alu instid0(VALU_DEP_2) | instskip(SKIP_1) | instid1(VALU_DEP_3)
	v_mad_u64_u32 v[8:9], null, s27, v6, v[3:4]
	v_add_nc_u32_e32 v3, 0x400, v3
	s_or_b32 s13, s3, s13
	ds_store_b32 v8, v4
	s_and_not1_b32 exec_lo, exec_lo, s13
	s_cbranch_execnz .LBB25_10
.LBB25_11:
	s_or_b32 exec_lo, exec_lo, s26
	s_load_b128 s[12:15], s[0:1], 0x0
	s_lshl_b32 s0, s37, 3
	s_mul_i32 s39, s8, s25
	s_add_i32 s38, s0, 0
	v_cmp_gt_i32_e32 vcc_lo, s39, v0
	s_cmp_gt_i32 s33, 0
	s_mov_b32 s27, 0
	s_cselect_b32 s40, -1, 0
	s_cmp_lt_i32 s33, 1
	s_waitcnt lgkmcnt(0)
	s_waitcnt_vscnt null, 0x0
	s_barrier
	buffer_gl0_inv
	s_cbranch_scc1 .LBB25_19
; %bb.12:
	v_mad_u64_u32 v[1:2], null, v0, s9, 0
	v_mov_b32_e32 v4, 0
	s_mov_b32 s26, s9
	s_mov_b32 s3, 0
	s_lshl_b64 s[30:31], s[26:27], 8
	s_branch .LBB25_14
.LBB25_13:                              ;   in Loop: Header=BB25_14 Depth=1
	s_set_inst_prefetch_distance 0x2
	s_or_b32 exec_lo, exec_lo, s26
	s_add_i32 s3, s3, s25
	s_add_i32 s27, s27, s39
	s_cmp_ge_i32 s3, s33
	s_waitcnt lgkmcnt(0)
	s_barrier
	buffer_gl0_inv
	s_cbranch_scc1 .LBB25_19
.LBB25_14:                              ; =>This Loop Header: Depth=1
                                        ;     Child Loop BB25_17 Depth 2
	s_and_saveexec_b32 s26, vcc_lo
	s_cbranch_execz .LBB25_13
; %bb.15:                               ;   in Loop: Header=BB25_14 Depth=1
	v_dual_mov_b32 v6, v2 :: v_dual_mov_b32 v5, v1
	v_mov_b32_e32 v8, v0
	s_mov_b32 s42, 0
	s_set_inst_prefetch_distance 0x1
	s_branch .LBB25_17
	.p2align	6
.LBB25_16:                              ;   in Loop: Header=BB25_17 Depth=2
	s_or_b32 exec_lo, exec_lo, s1
	v_add_nc_u32_e32 v8, 0x100, v8
	v_add_co_u32 v5, s1, v5, s30
	s_delay_alu instid0(VALU_DEP_1) | instskip(NEXT) | instid1(VALU_DEP_3)
	v_add_co_ci_u32_e64 v6, s1, s31, v6, s1
	v_cmp_le_i32_e64 s0, s39, v8
	s_waitcnt vmcnt(48) lgkmcnt(7)
	s_delay_alu instid0(VALU_DEP_1) | instskip(NEXT) | instid1(SALU_CYCLE_1)
	s_or_b32 s42, s0, s42
	s_and_not1_b32 exec_lo, exec_lo, s42
	s_cbranch_execz .LBB25_13
.LBB25_17:                              ;   Parent Loop BB25_14 Depth=1
                                        ; =>  This Inner Loop Header: Depth=2
	s_delay_alu instid0(VALU_DEP_1) | instskip(SKIP_1) | instid1(VALU_DEP_1)
	v_add_nc_u32_e32 v3, v8, v6
	s_mov_b32 s1, exec_lo
	v_lshrrev_b32_e32 v9, s10, v3
	s_delay_alu instid0(VALU_DEP_1) | instskip(NEXT) | instid1(VALU_DEP_1)
	v_add_nc_u32_e32 v3, s3, v9
	v_cmpx_gt_i32_e64 s33, v3
	s_cbranch_execz .LBB25_16
; %bb.18:                               ;   in Loop: Header=BB25_17 Depth=2
	v_add_nc_u32_e32 v3, s27, v8
	v_mul_lo_u32 v9, v9, s37
	s_delay_alu instid0(VALU_DEP_2) | instskip(NEXT) | instid1(VALU_DEP_2)
	v_lshlrev_b64 v[10:11], 2, v[3:4]
	v_lshlrev_b32_e32 v9, 2, v9
	s_delay_alu instid0(VALU_DEP_2) | instskip(NEXT) | instid1(VALU_DEP_1)
	v_add_co_u32 v10, s0, s12, v10
	v_add_co_ci_u32_e64 v11, s0, s13, v11, s0
	global_load_b32 v3, v[10:11], off
	s_waitcnt vmcnt(0)
	v_lshlrev_b32_e32 v3, 2, v3
	s_delay_alu instid0(VALU_DEP_1)
	v_add3_u32 v3, s38, v3, v9
	ds_load_b32 v9, v3
	s_waitcnt lgkmcnt(0)
	v_add_nc_u32_e32 v9, 1, v9
	ds_store_b32 v3, v9
	s_branch .LBB25_16
.LBB25_19:
	s_mov_b32 s0, exec_lo
	v_cmpx_eq_u32_e32 0, v0
	s_cbranch_execz .LBB25_21
; %bb.20:
	v_mov_b32_e32 v1, 0
	ds_store_b32 v1, v1
.LBB25_21:
	s_or_b32 exec_lo, exec_lo, s0
	v_and_b32_e32 v8, 7, v0
	v_lshrrev_b32_e32 v9, 3, v0
	v_mbcnt_lo_u32_b32 v10, -1, 0
	s_mov_b32 s26, 0
	s_delay_alu instid0(VALU_DEP_3) | instskip(NEXT) | instid1(VALU_DEP_3)
	v_mul_lo_u32 v1, s37, v8
	v_cmp_gt_i32_e64 s0, s24, v9
	v_lshlrev_b32_e32 v6, 2, v9
	s_delay_alu instid0(VALU_DEP_3) | instskip(NEXT) | instid1(VALU_DEP_3)
	v_lshlrev_b32_e32 v5, 2, v1
	s_and_saveexec_b32 s3, s0
	s_cbranch_execz .LBB25_29
; %bb.22:
	s_cmp_gt_i32 s4, 2
	v_lshlrev_b32_e32 v3, 2, v10
	s_cselect_b32 s4, -1, 0
	s_lshl_b32 s1, s24, 3
	v_mov_b32_e32 v11, v9
	v_add3_u32 v4, v5, s1, v6
	v_cmp_eq_u32_e64 s1, 0, v8
	v_xor_b32_e32 v1, 4, v3
	v_xor_b32_e32 v2, 8, v3
	;; [unrolled: 1-line block ×3, first 2 shown]
	v_add3_u32 v4, v4, 0, 8
	s_lshl_b32 s30, s24, 8
	s_lshl_b32 s27, s24, 5
	s_addk_i32 s30, 0x100
	s_add_i32 s31, s27, 32
	s_branch .LBB25_24
.LBB25_23:                              ;   in Loop: Header=BB25_24 Depth=1
	s_or_b32 exec_lo, exec_lo, s42
	v_add_nc_u32_e32 v11, 32, v11
	v_add_nc_u32_e32 v4, 0x80, v4
	s_delay_alu instid0(VALU_DEP_2) | instskip(SKIP_1) | instid1(SALU_CYCLE_1)
	v_cmp_le_i32_e32 vcc_lo, s24, v11
	s_or_b32 s26, vcc_lo, s26
	s_and_not1_b32 exec_lo, exec_lo, s26
	s_cbranch_execz .LBB25_29
.LBB25_24:                              ; =>This Loop Header: Depth=1
                                        ;     Child Loop BB25_26 Depth 2
	v_mov_b32_e32 v12, 0
	s_and_not1_b32 vcc_lo, exec_lo, s4
	s_cbranch_vccnz .LBB25_27
; %bb.25:                               ;   in Loop: Header=BB25_24 Depth=1
	v_dual_mov_b32 v12, 0 :: v_dual_mov_b32 v13, v4
	s_mov_b32 s42, 0
.LBB25_26:                              ;   Parent Loop BB25_24 Depth=1
                                        ; =>  This Inner Loop Header: Depth=2
	s_delay_alu instid0(VALU_DEP_1) | instskip(SKIP_2) | instid1(SALU_CYCLE_1)
	v_add_nc_u32_e32 v14, s27, v13
	ds_load_b32 v15, v13
	s_add_i32 s42, s42, 64
	s_cmp_lt_i32 s42, s25
	v_add_nc_u32_e32 v16, s31, v14
	ds_load_b32 v14, v14 offset:32
	v_add_nc_u32_e32 v17, s31, v16
	ds_load_b32 v16, v16 offset:32
	;; [unrolled: 2-line block ×3, first 2 shown]
	v_add_nc_u32_e32 v13, s30, v13
	v_add_nc_u32_e32 v19, s31, v18
	s_waitcnt lgkmcnt(3)
	ds_bpermute_b32 v20, v1, v15
	ds_load_b32 v18, v18 offset:32
	ds_load_b32 v21, v19 offset:32
	v_add_nc_u32_e32 v19, s31, v19
	s_waitcnt lgkmcnt(5)
	ds_bpermute_b32 v22, v1, v14
	ds_load_b32 v24, v19 offset:32
	s_waitcnt lgkmcnt(6)
	ds_bpermute_b32 v23, v1, v16
	v_add_nc_u32_e32 v19, s31, v19
	s_waitcnt lgkmcnt(6)
	ds_bpermute_b32 v25, v1, v17
	ds_load_b32 v19, v19 offset:32
	s_waitcnt lgkmcnt(7)
	v_add_nc_u32_e32 v15, v20, v15
	s_waitcnt lgkmcnt(6)
	ds_bpermute_b32 v20, v1, v18
	ds_bpermute_b32 v26, v2, v15
	s_waitcnt lgkmcnt(6)
	v_add_nc_u32_e32 v14, v22, v14
	ds_bpermute_b32 v22, v1, v21
	s_waitcnt lgkmcnt(6)
	ds_bpermute_b32 v27, v1, v24
	s_waitcnt lgkmcnt(6)
	v_add_nc_u32_e32 v16, v23, v16
	ds_bpermute_b32 v23, v2, v14
	ds_bpermute_b32 v28, v2, v16
	s_waitcnt lgkmcnt(7)
	v_add_nc_u32_e32 v17, v25, v17
	s_waitcnt lgkmcnt(6)
	ds_bpermute_b32 v25, v1, v19
	ds_bpermute_b32 v29, v2, v17
	s_waitcnt lgkmcnt(7)
	v_add_nc_u32_e32 v18, v20, v18
	s_waitcnt lgkmcnt(6)
	v_add_nc_u32_e32 v15, v26, v15
	;; [unrolled: 2-line block ×3, first 2 shown]
	ds_bpermute_b32 v20, v2, v18
	ds_bpermute_b32 v22, v3, v15
	s_waitcnt lgkmcnt(5)
	v_add_nc_u32_e32 v14, v23, v14
	v_add_nc_u32_e32 v23, v27, v24
	ds_bpermute_b32 v24, v2, v21
	s_waitcnt lgkmcnt(5)
	v_add_nc_u32_e32 v16, v28, v16
	ds_bpermute_b32 v26, v3, v14
	ds_bpermute_b32 v27, v2, v23
	s_waitcnt lgkmcnt(6)
	v_add_nc_u32_e32 v19, v25, v19
	ds_bpermute_b32 v25, v3, v16
	s_waitcnt lgkmcnt(6)
	v_add_nc_u32_e32 v17, v29, v17
	ds_bpermute_b32 v28, v2, v19
	ds_bpermute_b32 v29, v3, v17
	s_waitcnt lgkmcnt(7)
	v_add_nc_u32_e32 v18, v20, v18
	s_waitcnt lgkmcnt(6)
	v_add3_u32 v12, v15, v12, v22
	s_waitcnt lgkmcnt(5)
	v_add_nc_u32_e32 v20, v24, v21
	ds_bpermute_b32 v15, v3, v18
	s_waitcnt lgkmcnt(5)
	v_add3_u32 v12, v12, v14, v26
	s_waitcnt lgkmcnt(4)
	v_add_nc_u32_e32 v14, v27, v23
	ds_bpermute_b32 v21, v3, v20
	s_waitcnt lgkmcnt(4)
	v_add3_u32 v12, v12, v16, v25
	ds_bpermute_b32 v16, v3, v14
	s_waitcnt lgkmcnt(4)
	v_add_nc_u32_e32 v19, v28, v19
	s_waitcnt lgkmcnt(3)
	v_add3_u32 v12, v12, v17, v29
	ds_bpermute_b32 v17, v3, v19
	s_waitcnt lgkmcnt(3)
	v_add3_u32 v12, v12, v18, v15
	s_waitcnt lgkmcnt(2)
	s_delay_alu instid0(VALU_DEP_1) | instskip(SKIP_1) | instid1(VALU_DEP_1)
	v_add3_u32 v12, v12, v20, v21
	s_waitcnt lgkmcnt(1)
	v_add3_u32 v12, v12, v14, v16
	s_waitcnt lgkmcnt(0)
	s_delay_alu instid0(VALU_DEP_1)
	v_add3_u32 v12, v12, v19, v17
	s_cbranch_scc1 .LBB25_26
.LBB25_27:                              ;   in Loop: Header=BB25_24 Depth=1
	s_and_saveexec_b32 s42, s1
	s_cbranch_execz .LBB25_23
; %bb.28:                               ;   in Loop: Header=BB25_24 Depth=1
	v_lshl_add_u32 v13, v11, 2, 0
	ds_store_b32 v13, v12 offset:4
	s_branch .LBB25_23
.LBB25_29:
	s_or_b32 exec_lo, exec_lo, s3
	s_cmp_lg_u32 s41, 0
	s_mov_b32 s4, 0
	s_waitcnt lgkmcnt(0)
	s_barrier
	buffer_gl0_inv
	s_cbranch_scc1 .LBB25_38
; %bb.30:
	v_mov_b32_e32 v1, 0
	s_cmp_lt_i32 s24, 1
	s_cbranch_scc1 .LBB25_35
; %bb.31:
	v_lshlrev_b32_e32 v1, 2, v10
	v_cmp_eq_u32_e32 vcc_lo, 0, v10
	v_cmp_lt_u32_e64 s1, 15, v10
	s_add_i32 s26, s5, -1
	s_delay_alu instid0(VALU_DEP_3) | instskip(SKIP_1) | instid1(VALU_DEP_2)
	v_and_b32_e32 v2, 64, v1
	v_add3_u32 v3, v1, 0, 4
	v_add_nc_u32_e32 v2, -4, v2
	s_set_inst_prefetch_distance 0x1
	s_branch .LBB25_33
	.p2align	6
.LBB25_32:                              ;   in Loop: Header=BB25_33 Depth=1
	s_or_b32 exec_lo, exec_lo, s27
	v_add_nc_u32_e32 v3, 0x80, v3
	s_add_i32 s4, s4, 32
	s_waitcnt vmcnt(48) lgkmcnt(7)
	s_cmp_lt_i32 s4, s24
	s_cbranch_scc0 .LBB25_35
.LBB25_33:                              ; =>This Inner Loop Header: Depth=1
	ds_load_b32 v1, v3
	v_cndmask_b32_e64 v4, 0, s4, vcc_lo
	s_mov_b32 s27, exec_lo
	s_delay_alu instid0(VALU_DEP_1) | instskip(SKIP_4) | instid1(VALU_DEP_1)
	v_lshl_add_u32 v4, v4, 2, 0
	s_waitcnt lgkmcnt(0)
	v_add_nc_u32_e32 v11, s26, v1
	ds_load_b32 v1, v4
	v_mul_hi_u32 v4, v11, s6
	v_add_nc_u32_e32 v4, v11, v4
	s_delay_alu instid0(VALU_DEP_1) | instskip(SKIP_1) | instid1(VALU_DEP_1)
	v_lshrrev_b32_e32 v4, s7, v4
	s_waitcnt lgkmcnt(0)
	v_mad_u64_u32 v[11:12], null, v4, s5, v[1:2]
	s_delay_alu instid0(VALU_DEP_1) | instskip(SKIP_1) | instid1(VALU_DEP_2)
	v_add_nc_u32_dpp v1, v11, v11 row_shr:1 row_mask:0xf bank_mask:0xf bound_ctrl:1
	v_add_nc_u32_e32 v11, s4, v10
	v_add_nc_u32_dpp v1, v1, v1 row_shr:2 row_mask:0xf bank_mask:0xf bound_ctrl:1
	s_delay_alu instid0(VALU_DEP_1) | instskip(NEXT) | instid1(VALU_DEP_1)
	v_add_nc_u32_dpp v1, v1, v1 row_shr:4 row_mask:0xf bank_mask:0xf bound_ctrl:1
	v_add_nc_u32_dpp v1, v1, v1 row_shr:8 row_mask:0xf bank_mask:0xf bound_ctrl:1
	ds_bpermute_b32 v4, v2, v1
	s_waitcnt lgkmcnt(0)
	v_cndmask_b32_e64 v4, 0, v4, s1
	s_delay_alu instid0(VALU_DEP_1)
	v_add_nc_u32_e32 v1, v1, v4
	v_cmpx_gt_i32_e64 s24, v11
	s_cbranch_execz .LBB25_32
; %bb.34:                               ;   in Loop: Header=BB25_33 Depth=1
	ds_store_b32 v3, v1
	s_branch .LBB25_32
.LBB25_35:
	s_set_inst_prefetch_distance 0x2
	v_add3_u32 v2, v10, s4, 0xffffffe1
	s_mov_b32 s1, exec_lo
	s_delay_alu instid0(VALU_DEP_1)
	v_cmpx_eq_u32_e64 s24, v2
	s_cbranch_execz .LBB25_37
; %bb.36:
	v_dual_mov_b32 v3, 0 :: v_dual_mov_b32 v2, s33
	global_store_b64 v3, v[1:2], s[28:29]
.LBB25_37:
	s_or_b32 exec_lo, exec_lo, s1
.LBB25_38:
	s_cmp_eq_u64 s[34:35], 0
	s_waitcnt lgkmcnt(0)
	s_waitcnt_vscnt null, 0x0
	s_barrier
	buffer_gl0_inv
	s_cbranch_scc1 .LBB25_43
; %bb.39:
	s_mul_i32 s3, s33, s8
	s_mov_b32 s4, exec_lo
	v_cmpx_gt_i32_e64 s3, v0
	s_cbranch_execz .LBB25_42
; %bb.40:
	v_add_co_u32 v1, s1, s12, v7
	s_delay_alu instid0(VALU_DEP_1) | instskip(SKIP_1) | instid1(VALU_DEP_1)
	v_add_co_ci_u32_e64 v2, null, s13, 0, s1
	v_add_co_u32 v3, s1, s34, v7
	v_add_co_ci_u32_e64 v4, null, s35, 0, s1
	v_mov_b32_e32 v11, v0
	s_mov_b32 s26, 0
	.p2align	6
.LBB25_41:                              ; =>This Inner Loop Header: Depth=1
	global_load_b32 v12, v[1:2], off
	v_add_nc_u32_e32 v11, 0x100, v11
	v_add_co_u32 v1, vcc_lo, 0x400, v1
	v_add_co_ci_u32_e32 v2, vcc_lo, 0, v2, vcc_lo
	s_delay_alu instid0(VALU_DEP_3) | instskip(SKIP_4) | instid1(VALU_DEP_1)
	v_cmp_le_i32_e32 vcc_lo, s3, v11
	s_or_b32 s26, vcc_lo, s26
	s_waitcnt vmcnt(0)
	global_store_b32 v[3:4], v12, off
	v_add_co_u32 v3, s1, 0x400, v3
	v_add_co_ci_u32_e64 v4, s1, 0, v4, s1
	s_and_not1_b32 exec_lo, exec_lo, s26
	s_cbranch_execnz .LBB25_41
.LBB25_42:
	s_or_b32 exec_lo, exec_lo, s4
	s_waitcnt_vscnt null, 0x0
	s_barrier
	buffer_gl0_inv
.LBB25_43:
	s_lshl_b32 s4, s24, 2
	v_cmp_gt_i32_e64 s1, s24, v0
	s_add_i32 s27, s4, 0
	s_mov_b32 s28, 0
	s_add_i32 s26, s27, 4
	s_delay_alu instid0(VALU_DEP_1)
	s_and_saveexec_b32 s29, s1
	s_cbranch_execz .LBB25_49
; %bb.44:
	v_dual_mov_b32 v2, 0 :: v_dual_mov_b32 v11, v0
	s_set_inst_prefetch_distance 0x1
	s_branch .LBB25_46
	.p2align	6
.LBB25_45:                              ;   in Loop: Header=BB25_46 Depth=1
	s_or_b32 exec_lo, exec_lo, s30
	v_add_nc_u32_e32 v11, 0x100, v11
	s_delay_alu instid0(VALU_DEP_1) | instskip(SKIP_1) | instid1(SALU_CYCLE_1)
	v_cmp_le_i32_e32 vcc_lo, s24, v11
	s_or_b32 s28, vcc_lo, s28
	s_and_not1_b32 exec_lo, exec_lo, s28
	s_cbranch_execz .LBB25_49
.LBB25_46:                              ; =>This Loop Header: Depth=1
                                        ;     Child Loop BB25_48 Depth 2
	s_delay_alu instid0(VALU_DEP_1) | instskip(SKIP_1) | instid1(VALU_DEP_1)
	v_lshlrev_b32_e32 v1, 2, v11
	s_mov_b32 s30, exec_lo
	v_add_nc_u32_e32 v3, 0, v1
	v_add_nc_u32_e32 v1, s26, v1
	ds_load_2addr_b32 v[3:4], v3 offset1:1
	s_waitcnt lgkmcnt(0)
	ds_store_b32 v1, v3
	v_cmpx_lt_i32_e64 v3, v4
	s_cbranch_execz .LBB25_45
; %bb.47:                               ;   in Loop: Header=BB25_46 Depth=1
	s_mov_b32 s31, 0
	.p2align	6
.LBB25_48:                              ;   Parent Loop BB25_46 Depth=1
                                        ; =>  This Inner Loop Header: Depth=2
	v_mul_hi_u32 v1, s6, v3
	s_delay_alu instid0(VALU_DEP_1) | instskip(SKIP_1) | instid1(VALU_DEP_2)
	v_add_nc_u32_e32 v1, v3, v1
	v_add_nc_u32_e32 v3, s5, v3
	v_lshrrev_b32_e32 v1, s7, v1
	s_delay_alu instid0(VALU_DEP_2) | instskip(NEXT) | instid1(VALU_DEP_2)
	v_cmp_ge_i32_e32 vcc_lo, v3, v4
	v_lshlrev_b64 v[12:13], 2, v[1:2]
	s_or_b32 s31, vcc_lo, s31
	s_delay_alu instid0(VALU_DEP_1) | instskip(NEXT) | instid1(VALU_DEP_1)
	v_add_co_u32 v12, s3, s22, v12
	v_add_co_ci_u32_e64 v13, s3, s23, v13, s3
	global_store_b32 v[12:13], v11, off
	s_and_not1_b32 exec_lo, exec_lo, s31
	s_cbranch_execnz .LBB25_48
	s_branch .LBB25_45
.LBB25_49:
	s_set_inst_prefetch_distance 0x2
	s_or_b32 exec_lo, exec_lo, s29
	s_add_i32 s3, s27, s4
	s_delay_alu instid0(SALU_CYCLE_1)
	v_dual_mov_b32 v1, s27 :: v_dual_mov_b32 v2, s3
	s_waitcnt lgkmcnt(0)
	s_waitcnt_vscnt null, 0x0
	s_barrier
	buffer_gl0_inv
	ds_load_b32 v1, v1
	s_and_not1_b32 vcc_lo, exec_lo, s40
	s_waitcnt lgkmcnt(0)
	ds_store_b32 v2, v1 offset:4
	s_cbranch_vccnz .LBB25_69
; %bb.50:
	s_sub_i32 s5, s37, s11
	s_add_u32 s11, s18, -4
	s_addc_u32 s27, s19, -1
	s_add_u32 s28, s14, -4
	s_addc_u32 s29, s15, -1
	v_dual_mov_b32 v14, 0 :: v_dual_and_b32 v1, 8, v10
	s_add_u32 s30, s20, -4
	s_addc_u32 s31, s21, -1
	s_lshl_b32 s35, s24, 3
	s_delay_alu instid0(VALU_DEP_1)
	v_cmp_eq_u32_e64 s4, 0, v1
	v_add3_u32 v5, v5, s35, v6
	v_mad_u64_u32 v[1:2], null, v0, s16, 0
	v_mad_u64_u32 v[3:4], null, v0, s9, 0
	v_mul_lo_u32 v12, s8, v8
	s_add_i32 s14, s35, 0
	s_mov_b32 s7, 0
	v_cmp_gt_i32_e32 vcc_lo, s39, v0
	v_cmp_gt_i32_e64 s3, s25, v8
	v_or_b32_e32 v10, 28, v7
	v_add3_u32 v11, s14, v7, 8
	v_add3_u32 v13, v5, 0, 8
	s_mov_b32 s6, s16
	s_mov_b32 s22, s9
	;; [unrolled: 1-line block ×3, first 2 shown]
	s_lshl_b32 s35, s24, 5
	s_lshl_b32 s34, s5, 2
	s_lshl_b64 s[14:15], s[6:7], 8
	s_sub_i32 s16, 0, s8
	s_lshl_b64 s[22:23], s[22:23], 8
	s_lshl_b32 s9, s8, 3
	s_add_i32 s35, s35, 32
	s_mov_b32 s40, s7
	s_branch .LBB25_52
.LBB25_51:                              ;   in Loop: Header=BB25_52 Depth=1
	s_or_b32 exec_lo, exec_lo, s41
	v_add_nc_u32_e32 v12, s39, v12
	s_add_i32 s40, s40, s25
	s_add_i32 s7, s7, s39
	s_cmp_ge_i32 s40, s33
	s_waitcnt lgkmcnt(0)
	s_waitcnt_vscnt null, 0x0
	s_barrier
	buffer_gl0_inv
	s_cbranch_scc1 .LBB25_69
.LBB25_52:                              ; =>This Loop Header: Depth=1
                                        ;     Child Loop BB25_54 Depth 2
                                        ;     Child Loop BB25_58 Depth 2
	;; [unrolled: 1-line block ×3, first 2 shown]
                                        ;       Child Loop BB25_67 Depth 3
	s_and_saveexec_b32 s41, s2
	s_cbranch_execz .LBB25_55
; %bb.53:                               ;   in Loop: Header=BB25_52 Depth=1
	v_dual_mov_b32 v6, v2 :: v_dual_mov_b32 v5, v1
	v_mov_b32_e32 v7, v11
	v_mov_b32_e32 v15, v0
	s_mov_b32 s42, 0
	.p2align	6
.LBB25_54:                              ;   Parent Loop BB25_52 Depth=1
                                        ; =>  This Inner Loop Header: Depth=2
	s_delay_alu instid0(VALU_DEP_1) | instskip(SKIP_2) | instid1(VALU_DEP_1)
	v_add_nc_u32_e32 v16, v15, v6
	v_add_nc_u32_e32 v15, 0x100, v15
	v_add_co_u32 v5, s5, v5, s14
	v_add_co_ci_u32_e64 v6, s5, s15, v6, s5
	s_delay_alu instid0(VALU_DEP_4) | instskip(NEXT) | instid1(VALU_DEP_4)
	v_lshrrev_b32_e32 v18, s17, v16
	v_cmp_le_i32_e64 s6, s36, v15
	s_delay_alu instid0(VALU_DEP_2) | instskip(SKIP_1) | instid1(VALU_DEP_3)
	v_mad_u64_u32 v[16:17], null, s34, v18, v[7:8]
	v_add_nc_u32_e32 v7, 0x400, v7
	s_or_b32 s42, s6, s42
	ds_store_b32 v16, v14
	s_and_not1_b32 exec_lo, exec_lo, s42
	s_cbranch_execnz .LBB25_54
.LBB25_55:                              ;   in Loop: Header=BB25_52 Depth=1
	s_or_b32 exec_lo, exec_lo, s41
	s_waitcnt lgkmcnt(0)
	s_barrier
	buffer_gl0_inv
	s_and_saveexec_b32 s41, vcc_lo
	s_cbranch_execz .LBB25_60
; %bb.56:                               ;   in Loop: Header=BB25_52 Depth=1
	v_dual_mov_b32 v6, v4 :: v_dual_mov_b32 v5, v3
	v_mov_b32_e32 v7, v0
	s_mov_b32 s42, 0
	s_set_inst_prefetch_distance 0x1
	s_branch .LBB25_58
	.p2align	6
.LBB25_57:                              ;   in Loop: Header=BB25_58 Depth=2
	s_or_b32 exec_lo, exec_lo, s6
	v_add_nc_u32_e32 v7, 0x100, v7
	v_add_co_u32 v5, s6, v5, s22
	s_delay_alu instid0(VALU_DEP_1) | instskip(NEXT) | instid1(VALU_DEP_3)
	v_add_co_ci_u32_e64 v6, s6, s23, v6, s6
	v_cmp_le_i32_e64 s5, s39, v7
	s_delay_alu instid0(VALU_DEP_1) | instskip(NEXT) | instid1(SALU_CYCLE_1)
	s_or_b32 s42, s5, s42
	s_and_not1_b32 exec_lo, exec_lo, s42
	s_cbranch_execz .LBB25_60
.LBB25_58:                              ;   Parent Loop BB25_52 Depth=1
                                        ; =>  This Inner Loop Header: Depth=2
	s_delay_alu instid0(VALU_DEP_1) | instskip(SKIP_1) | instid1(VALU_DEP_1)
	v_add_nc_u32_e32 v15, v7, v6
	s_mov_b32 s6, exec_lo
	v_lshrrev_b32_e32 v15, s10, v15
	s_delay_alu instid0(VALU_DEP_1) | instskip(NEXT) | instid1(VALU_DEP_1)
	v_add_nc_u32_e32 v16, s40, v15
	v_cmpx_gt_i32_e64 s33, v16
	s_cbranch_execz .LBB25_57
; %bb.59:                               ;   in Loop: Header=BB25_58 Depth=2
	v_add_nc_u32_e32 v16, s7, v7
	s_delay_alu instid0(VALU_DEP_1) | instskip(NEXT) | instid1(VALU_DEP_1)
	v_ashrrev_i32_e32 v17, 31, v16
	v_lshlrev_b64 v[16:17], 2, v[16:17]
	s_delay_alu instid0(VALU_DEP_1) | instskip(NEXT) | instid1(VALU_DEP_1)
	v_add_co_u32 v16, s5, s12, v16
	v_add_co_ci_u32_e64 v17, s5, s13, v17, s5
	global_load_b32 v16, v[16:17], off
	v_mul_lo_u32 v17, v15, s37
	v_mul_lo_u32 v15, s16, v15
	s_delay_alu instid0(VALU_DEP_2) | instskip(NEXT) | instid1(VALU_DEP_2)
	v_lshlrev_b32_e32 v17, 2, v17
	v_add3_u32 v15, v7, v15, 1
	s_waitcnt vmcnt(0)
	v_lshlrev_b32_e32 v16, 2, v16
	s_delay_alu instid0(VALU_DEP_1)
	v_add3_u32 v16, s38, v16, v17
	ds_store_b32 v16, v15
	s_branch .LBB25_57
.LBB25_60:                              ;   in Loop: Header=BB25_52 Depth=1
	s_set_inst_prefetch_distance 0x2
	s_or_b32 exec_lo, exec_lo, s41
	s_waitcnt lgkmcnt(0)
	s_barrier
	buffer_gl0_inv
	s_and_saveexec_b32 s41, s0
	s_cbranch_execz .LBB25_51
; %bb.61:                               ;   in Loop: Header=BB25_52 Depth=1
	v_mov_b32_e32 v5, v13
	v_mov_b32_e32 v6, v9
	s_mov_b32 s42, 0
	s_branch .LBB25_64
.LBB25_62:                              ;   in Loop: Header=BB25_64 Depth=2
	s_or_b32 exec_lo, exec_lo, s44
.LBB25_63:                              ;   in Loop: Header=BB25_64 Depth=2
	s_delay_alu instid0(SALU_CYCLE_1)
	s_or_b32 exec_lo, exec_lo, s43
	v_add_nc_u32_e32 v6, 32, v6
	v_add_nc_u32_e32 v5, 0x80, v5
	s_waitcnt lgkmcnt(0)
	ds_store_b32 v7, v15
	v_cmp_le_i32_e64 s5, s24, v6
	s_delay_alu instid0(VALU_DEP_1) | instskip(NEXT) | instid1(SALU_CYCLE_1)
	s_or_b32 s42, s5, s42
	s_and_not1_b32 exec_lo, exec_lo, s42
	s_cbranch_execz .LBB25_51
.LBB25_64:                              ;   Parent Loop BB25_52 Depth=1
                                        ; =>  This Loop Header: Depth=2
                                        ;       Child Loop BB25_67 Depth 3
	s_delay_alu instid0(VALU_DEP_1)
	v_lshl_add_u32 v7, v6, 2, 0
	ds_load_b32 v15, v7
	s_and_saveexec_b32 s43, s3
	s_cbranch_execz .LBB25_63
; %bb.65:                               ;   in Loop: Header=BB25_64 Depth=2
	v_dual_mov_b32 v16, v5 :: v_dual_mov_b32 v17, v12
	v_mov_b32_e32 v18, v8
	s_mov_b32 s44, 0
	s_branch .LBB25_67
.LBB25_66:                              ;   in Loop: Header=BB25_67 Depth=3
	s_or_b32 exec_lo, exec_lo, s6
	ds_bpermute_b32 v19, v10, v19
	v_add_nc_u32_e32 v18, 8, v18
	v_add_nc_u32_e32 v17, s9, v17
	;; [unrolled: 1-line block ×3, first 2 shown]
	s_delay_alu instid0(VALU_DEP_3) | instskip(NEXT) | instid1(VALU_DEP_1)
	v_cmp_le_i32_e64 s5, s25, v18
	s_or_b32 s44, s5, s44
	s_waitcnt lgkmcnt(0)
	v_add_nc_u32_e32 v15, v19, v15
	s_and_not1_b32 exec_lo, exec_lo, s44
	s_cbranch_execz .LBB25_62
.LBB25_67:                              ;   Parent Loop BB25_52 Depth=1
                                        ;     Parent Loop BB25_64 Depth=2
                                        ; =>    This Inner Loop Header: Depth=3
	ds_load_b32 v20, v16
	s_waitcnt lgkmcnt(0)
	v_cmp_ne_u32_e64 s5, 0, v20
	s_delay_alu instid0(VALU_DEP_1) | instskip(NEXT) | instid1(VALU_DEP_1)
	v_cndmask_b32_e64 v19, 0, 1, s5
	v_mov_b32_dpp v19, v19 row_shr:1 row_mask:0xf bank_mask:0xf bound_ctrl:1
	s_delay_alu instid0(VALU_DEP_1) | instskip(NEXT) | instid1(VALU_DEP_1)
	v_add_co_ci_u32_e64 v21, s6, 0, v19, s5
	v_mov_b32_dpp v21, v21 row_shr:2 row_mask:0xf bank_mask:0xf bound_ctrl:1
	s_delay_alu instid0(VALU_DEP_1) | instskip(NEXT) | instid1(VALU_DEP_1)
	v_add_co_ci_u32_e64 v19, s6, v21, v19, s5
	v_add_nc_u32_dpp v19, v19, v19 row_shr:4 row_mask:0xf bank_mask:0xf bound_ctrl:1
	s_delay_alu instid0(VALU_DEP_1) | instskip(NEXT) | instid1(VALU_DEP_1)
	v_add_nc_u32_dpp v19, v19, v19 row_shr:8 row_mask:0xf bank_mask:0xf bound_ctrl:1
	v_mov_b32_dpp v21, v19 row_share:7 row_mask:0xf bank_mask:0xf bound_ctrl:1
	s_delay_alu instid0(VALU_DEP_1) | instskip(NEXT) | instid1(VALU_DEP_1)
	v_cndmask_b32_e64 v21, v21, 0, s4
	v_sub_nc_u32_e32 v19, v19, v21
	s_and_saveexec_b32 s6, s5
	s_cbranch_execz .LBB25_66
; %bb.68:                               ;   in Loop: Header=BB25_67 Depth=3
	v_add_nc_u32_e32 v21, v17, v20
	v_add_nc_u32_e32 v23, s40, v18
	s_delay_alu instid0(VALU_DEP_2) | instskip(NEXT) | instid1(VALU_DEP_2)
	v_ashrrev_i32_e32 v22, 31, v21
	v_perm_b32 v23, v20, v23, 0x4020100
	s_delay_alu instid0(VALU_DEP_2) | instskip(NEXT) | instid1(VALU_DEP_2)
	v_lshlrev_b64 v[21:22], 2, v[21:22]
	v_add_nc_u32_e32 v25, 0xff000000, v23
	s_delay_alu instid0(VALU_DEP_2) | instskip(NEXT) | instid1(VALU_DEP_1)
	v_add_co_u32 v21, s5, s28, v21
	v_add_co_ci_u32_e64 v22, s5, s29, v22, s5
	global_load_b32 v24, v[21:22], off
	v_add_nc_u32_e32 v21, v19, v15
	s_delay_alu instid0(VALU_DEP_1) | instskip(NEXT) | instid1(VALU_DEP_1)
	v_ashrrev_i32_e32 v22, 31, v21
	v_lshlrev_b64 v[20:21], 2, v[21:22]
	s_delay_alu instid0(VALU_DEP_1) | instskip(NEXT) | instid1(VALU_DEP_1)
	v_add_co_u32 v22, s5, s11, v20
	v_add_co_ci_u32_e64 v23, s5, s27, v21, s5
	v_add_co_u32 v20, s5, s30, v20
	s_delay_alu instid0(VALU_DEP_1)
	v_add_co_ci_u32_e64 v21, s5, s31, v21, s5
	global_store_b32 v[22:23], v25, off
	s_waitcnt vmcnt(0)
	global_store_b32 v[20:21], v24, off
	s_branch .LBB25_66
.LBB25_69:
	s_and_saveexec_b32 s0, s1
	s_cbranch_execz .LBB25_75
; %bb.70:
	v_mov_b32_e32 v6, 0
	s_and_b32 s0, s33, 0xffffff
	s_lshl_b32 s1, s8, 24
	s_add_i32 s26, s26, 4
	s_or_b32 s1, s0, s1
	s_mov_b32 s2, 0
	s_set_inst_prefetch_distance 0x1
	s_branch .LBB25_72
	.p2align	6
.LBB25_71:                              ;   in Loop: Header=BB25_72 Depth=1
	s_or_b32 exec_lo, exec_lo, s3
	v_add_nc_u32_e32 v0, 0x100, v0
	s_delay_alu instid0(VALU_DEP_1) | instskip(SKIP_1) | instid1(SALU_CYCLE_1)
	v_cmp_le_i32_e32 vcc_lo, s24, v0
	s_or_b32 s2, vcc_lo, s2
	s_and_not1_b32 exec_lo, exec_lo, s2
	s_cbranch_execz .LBB25_75
.LBB25_72:                              ; =>This Loop Header: Depth=1
                                        ;     Child Loop BB25_74 Depth 2
	v_lshlrev_b32_e32 v1, 2, v0
	s_mov_b32 s3, exec_lo
	s_delay_alu instid0(VALU_DEP_1)
	v_add_nc_u32_e32 v2, 0, v1
	v_add_nc_u32_e32 v3, s26, v1
	ds_load_b32 v1, v2
	ds_load_b32 v7, v3
	s_waitcnt lgkmcnt(0)
	v_cmpx_lt_i32_e64 v1, v7
	s_cbranch_execz .LBB25_71
; %bb.73:                               ;   in Loop: Header=BB25_72 Depth=1
	v_ashrrev_i32_e32 v2, 31, v1
	s_mov_b32 s4, 0
	s_delay_alu instid0(VALU_DEP_1) | instskip(NEXT) | instid1(VALU_DEP_1)
	v_lshlrev_b64 v[4:5], 2, v[1:2]
	v_add_co_u32 v2, vcc_lo, s18, v4
	s_delay_alu instid0(VALU_DEP_2)
	v_add_co_ci_u32_e32 v3, vcc_lo, s19, v5, vcc_lo
	v_add_co_u32 v4, vcc_lo, s20, v4
	v_add_co_ci_u32_e32 v5, vcc_lo, s21, v5, vcc_lo
	.p2align	6
.LBB25_74:                              ;   Parent Loop BB25_72 Depth=1
                                        ; =>  This Inner Loop Header: Depth=2
	v_dual_mov_b32 v8, s1 :: v_dual_add_nc_u32 v1, 1, v1
	global_store_b32 v[4:5], v6, off
	v_add_co_u32 v4, vcc_lo, v4, 4
	v_add_co_ci_u32_e32 v5, vcc_lo, 0, v5, vcc_lo
	global_store_b32 v[2:3], v8, off
	v_cmp_ge_i32_e32 vcc_lo, v1, v7
	v_add_co_u32 v2, s0, v2, 4
	s_delay_alu instid0(VALU_DEP_1) | instskip(SKIP_1) | instid1(SALU_CYCLE_1)
	v_add_co_ci_u32_e64 v3, s0, 0, v3, s0
	s_or_b32 s4, vcc_lo, s4
	s_and_not1_b32 exec_lo, exec_lo, s4
	s_cbranch_execnz .LBB25_74
	s_branch .LBB25_71
.LBB25_75:
	s_set_inst_prefetch_distance 0x2
	s_nop 0
	s_sendmsg sendmsg(MSG_DEALLOC_VGPRS)
	s_endpgm
	.section	.rodata,"a",@progbits
	.p2align	6, 0x0
	.amdhsa_kernel _ZN5aiter22opus_moe_sorting_entryINS_16MoeSortingKernelINS_19MoeSortingProblemExIifLi8ELb0ELb0ELb1ELb1ELi0EEEEENS4_5KargsEEEvT0_
		.amdhsa_group_segment_fixed_size 0
		.amdhsa_private_segment_fixed_size 0
		.amdhsa_kernarg_size 400
		.amdhsa_user_sgpr_count 15
		.amdhsa_user_sgpr_dispatch_ptr 0
		.amdhsa_user_sgpr_queue_ptr 0
		.amdhsa_user_sgpr_kernarg_segment_ptr 1
		.amdhsa_user_sgpr_dispatch_id 0
		.amdhsa_user_sgpr_private_segment_size 0
		.amdhsa_wavefront_size32 1
		.amdhsa_uses_dynamic_stack 0
		.amdhsa_enable_private_segment 0
		.amdhsa_system_sgpr_workgroup_id_x 1
		.amdhsa_system_sgpr_workgroup_id_y 0
		.amdhsa_system_sgpr_workgroup_id_z 0
		.amdhsa_system_sgpr_workgroup_info 0
		.amdhsa_system_vgpr_workitem_id 0
		.amdhsa_next_free_vgpr 30
		.amdhsa_next_free_sgpr 45
		.amdhsa_reserve_vcc 1
		.amdhsa_float_round_mode_32 0
		.amdhsa_float_round_mode_16_64 0
		.amdhsa_float_denorm_mode_32 3
		.amdhsa_float_denorm_mode_16_64 3
		.amdhsa_dx10_clamp 1
		.amdhsa_ieee_mode 1
		.amdhsa_fp16_overflow 0
		.amdhsa_workgroup_processor_mode 1
		.amdhsa_memory_ordered 1
		.amdhsa_forward_progress 0
		.amdhsa_shared_vgpr_count 0
		.amdhsa_exception_fp_ieee_invalid_op 0
		.amdhsa_exception_fp_denorm_src 0
		.amdhsa_exception_fp_ieee_div_zero 0
		.amdhsa_exception_fp_ieee_overflow 0
		.amdhsa_exception_fp_ieee_underflow 0
		.amdhsa_exception_fp_ieee_inexact 0
		.amdhsa_exception_int_div_zero 0
	.end_amdhsa_kernel
	.section	.text._ZN5aiter22opus_moe_sorting_entryINS_16MoeSortingKernelINS_19MoeSortingProblemExIifLi8ELb0ELb0ELb1ELb1ELi0EEEEENS4_5KargsEEEvT0_,"axG",@progbits,_ZN5aiter22opus_moe_sorting_entryINS_16MoeSortingKernelINS_19MoeSortingProblemExIifLi8ELb0ELb0ELb1ELb1ELi0EEEEENS4_5KargsEEEvT0_,comdat
.Lfunc_end25:
	.size	_ZN5aiter22opus_moe_sorting_entryINS_16MoeSortingKernelINS_19MoeSortingProblemExIifLi8ELb0ELb0ELb1ELb1ELi0EEEEENS4_5KargsEEEvT0_, .Lfunc_end25-_ZN5aiter22opus_moe_sorting_entryINS_16MoeSortingKernelINS_19MoeSortingProblemExIifLi8ELb0ELb0ELb1ELb1ELi0EEEEENS4_5KargsEEEvT0_
                                        ; -- End function
	.section	.AMDGPU.csdata,"",@progbits
; Kernel info:
; codeLenInByte = 3896
; NumSgprs: 47
; NumVgprs: 30
; ScratchSize: 0
; MemoryBound: 0
; FloatMode: 240
; IeeeMode: 1
; LDSByteSize: 0 bytes/workgroup (compile time only)
; SGPRBlocks: 5
; VGPRBlocks: 3
; NumSGPRsForWavesPerEU: 47
; NumVGPRsForWavesPerEU: 30
; Occupancy: 16
; WaveLimiterHint : 1
; COMPUTE_PGM_RSRC2:SCRATCH_EN: 0
; COMPUTE_PGM_RSRC2:USER_SGPR: 15
; COMPUTE_PGM_RSRC2:TRAP_HANDLER: 0
; COMPUTE_PGM_RSRC2:TGID_X_EN: 1
; COMPUTE_PGM_RSRC2:TGID_Y_EN: 0
; COMPUTE_PGM_RSRC2:TGID_Z_EN: 0
; COMPUTE_PGM_RSRC2:TIDIG_COMP_CNT: 0
	.section	.text._ZN5aiter22opus_moe_sorting_entryINS_16MoeSortingKernelINS_19MoeSortingProblemExIifLi4ELb0ELb0ELb1ELb1ELi0EEEEENS4_5KargsEEEvT0_,"axG",@progbits,_ZN5aiter22opus_moe_sorting_entryINS_16MoeSortingKernelINS_19MoeSortingProblemExIifLi4ELb0ELb0ELb1ELb1ELi0EEEEENS4_5KargsEEEvT0_,comdat
	.protected	_ZN5aiter22opus_moe_sorting_entryINS_16MoeSortingKernelINS_19MoeSortingProblemExIifLi4ELb0ELb0ELb1ELb1ELi0EEEEENS4_5KargsEEEvT0_ ; -- Begin function _ZN5aiter22opus_moe_sorting_entryINS_16MoeSortingKernelINS_19MoeSortingProblemExIifLi4ELb0ELb0ELb1ELb1ELi0EEEEENS4_5KargsEEEvT0_
	.globl	_ZN5aiter22opus_moe_sorting_entryINS_16MoeSortingKernelINS_19MoeSortingProblemExIifLi4ELb0ELb0ELb1ELb1ELi0EEEEENS4_5KargsEEEvT0_
	.p2align	8
	.type	_ZN5aiter22opus_moe_sorting_entryINS_16MoeSortingKernelINS_19MoeSortingProblemExIifLi4ELb0ELb0ELb1ELb1ELi0EEEEENS4_5KargsEEEvT0_,@function
_ZN5aiter22opus_moe_sorting_entryINS_16MoeSortingKernelINS_19MoeSortingProblemExIifLi4ELb0ELb0ELb1ELb1ELi0EEEEENS4_5KargsEEEvT0_: ; @_ZN5aiter22opus_moe_sorting_entryINS_16MoeSortingKernelINS_19MoeSortingProblemExIifLi4ELb0ELb0ELb1ELb1ELi0EEEEENS4_5KargsEEEvT0_
; %bb.0:
	s_clause 0x3
	s_load_b256 s[16:23], s[0:1], 0x18
	s_load_b128 s[28:31], s[0:1], 0x38
	s_load_b64 s[34:35], s[0:1], 0x48
	s_load_b128 s[24:27], s[0:1], 0x54
	s_cmp_eq_u32 s15, 0
	s_waitcnt lgkmcnt(0)
	s_load_b32 s33, s[16:17], 0x0
	s_cbranch_scc1 .LBB26_7
; %bb.1:
	s_cmp_eq_u64 s[30:31], 0
	s_cbranch_scc1 .LBB26_6
; %bb.2:
	s_waitcnt lgkmcnt(0)
	s_ashr_i32 s2, s33, 31
	s_mul_i32 s3, s26, s25
	s_mul_hi_i32 s5, s26, s25
	s_mul_i32 s2, s3, s2
	s_mul_hi_u32 s4, s3, s33
	s_mul_i32 s5, s5, s33
	s_add_i32 s2, s4, s2
	s_mul_i32 s3, s3, s33
	s_add_i32 s4, s2, s5
	v_mov_b32_e32 v2, 0
	s_ashr_i32 s2, s4, 31
	s_mov_b32 s7, 0
	s_lshr_b32 s2, s2, 28
	s_delay_alu instid0(SALU_CYCLE_1) | instskip(SKIP_2) | instid1(SALU_CYCLE_1)
	s_add_u32 s2, s3, s2
	s_addc_u32 s3, s4, 0
	s_lshl_b32 s4, s15, 8
	v_add3_u32 v1, v0, s4, 0xffffff00
	s_ashr_i64 s[4:5], s[2:3], 4
	s_mov_b32 s3, exec_lo
	s_delay_alu instid0(VALU_DEP_1)
	v_cmpx_gt_i64_e64 s[4:5], v[1:2]
	s_cbranch_execz .LBB26_5
; %bb.3:
	s_load_b32 s2, s[0:1], 0x90
	v_lshlrev_b64 v[3:4], 4, v[1:2]
	v_dual_mov_b32 v6, v2 :: v_dual_mov_b32 v5, v1
	v_mov_b32_e32 v1, v2
	s_delay_alu instid0(VALU_DEP_3) | instskip(NEXT) | instid1(VALU_DEP_4)
	v_add_co_u32 v7, vcc_lo, s30, v3
	v_add_co_ci_u32_e32 v8, vcc_lo, s31, v4, vcc_lo
	v_mov_b32_e32 v3, v2
	v_mov_b32_e32 v4, v2
	s_waitcnt lgkmcnt(0)
	s_lshl_b32 s2, s2, 8
	s_delay_alu instid0(SALU_CYCLE_1) | instskip(NEXT) | instid1(SALU_CYCLE_1)
	s_add_i32 s6, s2, 0xffffff00
	s_lshl_b64 s[8:9], s[6:7], 4
.LBB26_4:                               ; =>This Inner Loop Header: Depth=1
	v_add_co_u32 v5, vcc_lo, v5, s6
	v_add_co_ci_u32_e32 v6, vcc_lo, 0, v6, vcc_lo
	global_store_b128 v[7:8], v[1:4], off
	v_add_co_u32 v7, s2, v7, s8
	v_cmp_le_i64_e32 vcc_lo, s[4:5], v[5:6]
	v_add_co_ci_u32_e64 v8, s2, s9, v8, s2
	s_or_b32 s7, vcc_lo, s7
	s_delay_alu instid0(SALU_CYCLE_1)
	s_and_not1_b32 exec_lo, exec_lo, s7
	s_cbranch_execnz .LBB26_4
.LBB26_5:
	s_or_b32 exec_lo, exec_lo, s3
.LBB26_6:
	s_cbranch_execz .LBB26_8
	s_branch .LBB26_75
.LBB26_7:
.LBB26_8:
	s_clause 0x1
	s_load_b256 s[4:11], s[0:1], 0x64
	s_load_b64 s[16:17], s[0:1], 0x84
	v_lshrrev_b32_e32 v1, 5, v0
	v_lshlrev_b32_e32 v7, 2, v0
	s_add_i32 s37, s24, 1
	s_delay_alu instid0(VALU_DEP_2) | instskip(SKIP_2) | instid1(SALU_CYCLE_1)
	v_readfirstlane_b32 s41, v1
	s_waitcnt lgkmcnt(0)
	s_add_i32 s25, s4, -2
	s_mul_i32 s36, s25, s24
	s_delay_alu instid0(SALU_CYCLE_1) | instskip(NEXT) | instid1(VALU_DEP_1)
	v_cmp_gt_i32_e64 s2, s36, v0
	s_and_saveexec_b32 s26, s2
	s_cbranch_execz .LBB26_11
; %bb.9:
	s_lshl_b32 s3, s24, 3
	v_mad_u64_u32 v[1:2], null, v0, s16, 0
	s_add_i32 s3, s3, 0
	v_dual_mov_b32 v4, 0 :: v_dual_mov_b32 v5, v0
	v_add3_u32 v3, s3, v7, 8
	s_mov_b32 s13, 0
	s_sub_i32 s14, s37, s11
	s_mov_b32 s12, s16
	s_lshl_b32 s27, s14, 2
	s_lshl_b64 s[14:15], s[12:13], 8
	.p2align	6
.LBB26_10:                              ; =>This Inner Loop Header: Depth=1
	v_add_nc_u32_e32 v6, v5, v2
	v_add_nc_u32_e32 v5, 0x100, v5
	v_add_co_u32 v1, vcc_lo, v1, s14
	v_add_co_ci_u32_e32 v2, vcc_lo, s15, v2, vcc_lo
	s_delay_alu instid0(VALU_DEP_4) | instskip(NEXT) | instid1(VALU_DEP_4)
	v_lshrrev_b32_e32 v6, s17, v6
	v_cmp_le_i32_e64 s3, s36, v5
	s_delay_alu instid0(VALU_DEP_2) | instskip(SKIP_1) | instid1(VALU_DEP_3)
	v_mad_u64_u32 v[8:9], null, s27, v6, v[3:4]
	v_add_nc_u32_e32 v3, 0x400, v3
	s_or_b32 s13, s3, s13
	ds_store_b32 v8, v4
	s_and_not1_b32 exec_lo, exec_lo, s13
	s_cbranch_execnz .LBB26_10
.LBB26_11:
	s_or_b32 exec_lo, exec_lo, s26
	s_load_b128 s[12:15], s[0:1], 0x0
	s_lshl_b32 s0, s37, 3
	s_mul_i32 s39, s8, s25
	s_add_i32 s38, s0, 0
	v_cmp_gt_i32_e32 vcc_lo, s39, v0
	s_cmp_gt_i32 s33, 0
	s_mov_b32 s27, 0
	s_cselect_b32 s40, -1, 0
	s_cmp_lt_i32 s33, 1
	s_waitcnt lgkmcnt(0)
	s_waitcnt_vscnt null, 0x0
	s_barrier
	buffer_gl0_inv
	s_cbranch_scc1 .LBB26_19
; %bb.12:
	v_mad_u64_u32 v[1:2], null, v0, s9, 0
	v_mov_b32_e32 v4, 0
	s_mov_b32 s26, s9
	s_mov_b32 s3, 0
	s_lshl_b64 s[30:31], s[26:27], 8
	s_branch .LBB26_14
.LBB26_13:                              ;   in Loop: Header=BB26_14 Depth=1
	s_set_inst_prefetch_distance 0x2
	s_or_b32 exec_lo, exec_lo, s26
	s_add_i32 s3, s3, s25
	s_add_i32 s27, s27, s39
	s_cmp_ge_i32 s3, s33
	s_waitcnt lgkmcnt(0)
	s_barrier
	buffer_gl0_inv
	s_cbranch_scc1 .LBB26_19
.LBB26_14:                              ; =>This Loop Header: Depth=1
                                        ;     Child Loop BB26_17 Depth 2
	s_and_saveexec_b32 s26, vcc_lo
	s_cbranch_execz .LBB26_13
; %bb.15:                               ;   in Loop: Header=BB26_14 Depth=1
	v_dual_mov_b32 v6, v2 :: v_dual_mov_b32 v5, v1
	v_mov_b32_e32 v8, v0
	s_mov_b32 s42, 0
	s_set_inst_prefetch_distance 0x1
	s_branch .LBB26_17
	.p2align	6
.LBB26_16:                              ;   in Loop: Header=BB26_17 Depth=2
	s_or_b32 exec_lo, exec_lo, s1
	v_add_nc_u32_e32 v8, 0x100, v8
	v_add_co_u32 v5, s1, v5, s30
	s_delay_alu instid0(VALU_DEP_1) | instskip(NEXT) | instid1(VALU_DEP_3)
	v_add_co_ci_u32_e64 v6, s1, s31, v6, s1
	v_cmp_le_i32_e64 s0, s39, v8
	s_waitcnt vmcnt(48) lgkmcnt(7)
	s_delay_alu instid0(VALU_DEP_1) | instskip(NEXT) | instid1(SALU_CYCLE_1)
	s_or_b32 s42, s0, s42
	s_and_not1_b32 exec_lo, exec_lo, s42
	s_cbranch_execz .LBB26_13
.LBB26_17:                              ;   Parent Loop BB26_14 Depth=1
                                        ; =>  This Inner Loop Header: Depth=2
	s_delay_alu instid0(VALU_DEP_1) | instskip(SKIP_1) | instid1(VALU_DEP_1)
	v_add_nc_u32_e32 v3, v8, v6
	s_mov_b32 s1, exec_lo
	v_lshrrev_b32_e32 v9, s10, v3
	s_delay_alu instid0(VALU_DEP_1) | instskip(NEXT) | instid1(VALU_DEP_1)
	v_add_nc_u32_e32 v3, s3, v9
	v_cmpx_gt_i32_e64 s33, v3
	s_cbranch_execz .LBB26_16
; %bb.18:                               ;   in Loop: Header=BB26_17 Depth=2
	v_add_nc_u32_e32 v3, s27, v8
	v_mul_lo_u32 v9, v9, s37
	s_delay_alu instid0(VALU_DEP_2) | instskip(NEXT) | instid1(VALU_DEP_2)
	v_lshlrev_b64 v[10:11], 2, v[3:4]
	v_lshlrev_b32_e32 v9, 2, v9
	s_delay_alu instid0(VALU_DEP_2) | instskip(NEXT) | instid1(VALU_DEP_1)
	v_add_co_u32 v10, s0, s12, v10
	v_add_co_ci_u32_e64 v11, s0, s13, v11, s0
	global_load_b32 v3, v[10:11], off
	s_waitcnt vmcnt(0)
	v_lshlrev_b32_e32 v3, 2, v3
	s_delay_alu instid0(VALU_DEP_1)
	v_add3_u32 v3, s38, v3, v9
	ds_load_b32 v9, v3
	s_waitcnt lgkmcnt(0)
	v_add_nc_u32_e32 v9, 1, v9
	ds_store_b32 v3, v9
	s_branch .LBB26_16
.LBB26_19:
	s_mov_b32 s0, exec_lo
	v_cmpx_eq_u32_e32 0, v0
	s_cbranch_execz .LBB26_21
; %bb.20:
	v_mov_b32_e32 v1, 0
	ds_store_b32 v1, v1
.LBB26_21:
	s_or_b32 exec_lo, exec_lo, s0
	v_and_b32_e32 v8, 7, v0
	v_lshrrev_b32_e32 v9, 3, v0
	v_mbcnt_lo_u32_b32 v10, -1, 0
	s_mov_b32 s26, 0
	s_delay_alu instid0(VALU_DEP_3) | instskip(NEXT) | instid1(VALU_DEP_3)
	v_mul_lo_u32 v1, s37, v8
	v_cmp_gt_i32_e64 s0, s24, v9
	v_lshlrev_b32_e32 v5, 2, v9
	s_delay_alu instid0(VALU_DEP_3) | instskip(NEXT) | instid1(VALU_DEP_3)
	v_lshlrev_b32_e32 v6, 2, v1
	s_and_saveexec_b32 s3, s0
	s_cbranch_execz .LBB26_29
; %bb.22:
	s_cmp_gt_i32 s4, 2
	s_mul_i32 s27, s24, 0x68
	s_mul_i32 s30, s24, 0x48
	s_cselect_b32 s4, -1, 0
	s_add_i32 s27, s27, 0
	s_add_i32 s30, s30, 0
	v_dual_mov_b32 v14, v9 :: v_dual_lshlrev_b32 v3, 2, v10
	v_add3_u32 v4, s27, v6, 0x68
	v_add3_u32 v11, s30, v6, 0x48
	s_mul_i32 s27, s24, 40
	s_lshl_b32 s30, s24, 3
	s_add_i32 s27, s27, 0
	s_add_i32 s30, s30, 0
	v_cmp_eq_u32_e64 s1, 0, v8
	v_xor_b32_e32 v1, 4, v3
	v_xor_b32_e32 v2, 8, v3
	;; [unrolled: 1-line block ×3, first 2 shown]
	v_add3_u32 v12, s27, v6, 40
	v_add3_u32 v13, s30, v6, 8
	s_lshl_b32 s27, s24, 7
	s_delay_alu instid0(SALU_CYCLE_1)
	s_addk_i32 s27, 0x80
	s_branch .LBB26_24
.LBB26_23:                              ;   in Loop: Header=BB26_24 Depth=1
	s_or_b32 exec_lo, exec_lo, s30
	v_add_nc_u32_e32 v14, 32, v14
	v_add_nc_u32_e32 v4, 0x80, v4
	;; [unrolled: 1-line block ×5, first 2 shown]
	v_cmp_le_i32_e32 vcc_lo, s24, v14
	s_or_b32 s26, vcc_lo, s26
	s_delay_alu instid0(SALU_CYCLE_1)
	s_and_not1_b32 exec_lo, exec_lo, s26
	s_cbranch_execz .LBB26_29
.LBB26_24:                              ; =>This Loop Header: Depth=1
                                        ;     Child Loop BB26_26 Depth 2
	v_mov_b32_e32 v15, 0
	s_and_not1_b32 vcc_lo, exec_lo, s4
	s_cbranch_vccnz .LBB26_27
; %bb.25:                               ;   in Loop: Header=BB26_24 Depth=1
	v_dual_mov_b32 v15, 0 :: v_dual_mov_b32 v16, v13
	v_dual_mov_b32 v17, v12 :: v_dual_mov_b32 v18, v11
	v_mov_b32_e32 v19, v4
	s_mov_b32 s30, 0
.LBB26_26:                              ;   Parent Loop BB26_24 Depth=1
                                        ; =>  This Inner Loop Header: Depth=2
	s_delay_alu instid0(VALU_DEP_3) | instskip(NEXT) | instid1(VALU_DEP_3)
	v_add_nc_u32_e32 v20, v16, v5
	v_add_nc_u32_e32 v21, v17, v5
	;; [unrolled: 1-line block ×5, first 2 shown]
	ds_load_b32 v20, v20
	ds_load_b32 v21, v21
	;; [unrolled: 1-line block ×4, first 2 shown]
	v_add_nc_u32_e32 v18, s27, v18
	v_add_nc_u32_e32 v17, s27, v17
	;; [unrolled: 1-line block ×3, first 2 shown]
	s_add_i32 s30, s30, 32
	s_delay_alu instid0(SALU_CYCLE_1)
	s_cmp_lt_i32 s30, s25
	s_waitcnt lgkmcnt(3)
	ds_bpermute_b32 v24, v1, v20
	s_waitcnt lgkmcnt(3)
	ds_bpermute_b32 v25, v1, v21
	;; [unrolled: 2-line block ×4, first 2 shown]
	s_waitcnt lgkmcnt(3)
	v_add_nc_u32_e32 v20, v24, v20
	s_waitcnt lgkmcnt(2)
	v_add_nc_u32_e32 v21, v25, v21
	;; [unrolled: 2-line block ×4, first 2 shown]
	ds_bpermute_b32 v24, v2, v20
	ds_bpermute_b32 v25, v2, v21
	ds_bpermute_b32 v26, v2, v22
	ds_bpermute_b32 v27, v2, v23
	s_waitcnt lgkmcnt(3)
	v_add_nc_u32_e32 v20, v24, v20
	s_waitcnt lgkmcnt(2)
	v_add_nc_u32_e32 v21, v25, v21
	;; [unrolled: 2-line block ×4, first 2 shown]
	ds_bpermute_b32 v24, v3, v20
	ds_bpermute_b32 v25, v3, v21
	;; [unrolled: 1-line block ×4, first 2 shown]
	s_waitcnt lgkmcnt(3)
	v_add3_u32 v15, v20, v15, v24
	s_waitcnt lgkmcnt(2)
	s_delay_alu instid0(VALU_DEP_1) | instskip(SKIP_1) | instid1(VALU_DEP_1)
	v_add3_u32 v15, v15, v21, v25
	s_waitcnt lgkmcnt(1)
	v_add3_u32 v15, v15, v22, v26
	s_waitcnt lgkmcnt(0)
	s_delay_alu instid0(VALU_DEP_1)
	v_add3_u32 v15, v15, v23, v27
	s_cbranch_scc1 .LBB26_26
.LBB26_27:                              ;   in Loop: Header=BB26_24 Depth=1
	s_and_saveexec_b32 s30, s1
	s_cbranch_execz .LBB26_23
; %bb.28:                               ;   in Loop: Header=BB26_24 Depth=1
	v_lshl_add_u32 v16, v14, 2, 0
	ds_store_b32 v16, v15 offset:4
	s_branch .LBB26_23
.LBB26_29:
	s_or_b32 exec_lo, exec_lo, s3
	s_cmp_lg_u32 s41, 0
	s_mov_b32 s4, 0
	s_waitcnt lgkmcnt(0)
	s_barrier
	buffer_gl0_inv
	s_cbranch_scc1 .LBB26_38
; %bb.30:
	v_mov_b32_e32 v1, 0
	s_cmp_lt_i32 s24, 1
	s_cbranch_scc1 .LBB26_35
; %bb.31:
	v_lshlrev_b32_e32 v1, 2, v10
	v_cmp_eq_u32_e32 vcc_lo, 0, v10
	v_cmp_lt_u32_e64 s1, 15, v10
	s_add_i32 s26, s5, -1
	s_delay_alu instid0(VALU_DEP_3) | instskip(SKIP_1) | instid1(VALU_DEP_2)
	v_and_b32_e32 v2, 64, v1
	v_add3_u32 v3, v1, 0, 4
	v_add_nc_u32_e32 v2, -4, v2
	s_set_inst_prefetch_distance 0x1
	s_branch .LBB26_33
	.p2align	6
.LBB26_32:                              ;   in Loop: Header=BB26_33 Depth=1
	s_or_b32 exec_lo, exec_lo, s27
	v_add_nc_u32_e32 v3, 0x80, v3
	s_add_i32 s4, s4, 32
	s_waitcnt vmcnt(48) lgkmcnt(7)
	s_cmp_lt_i32 s4, s24
	s_cbranch_scc0 .LBB26_35
.LBB26_33:                              ; =>This Inner Loop Header: Depth=1
	ds_load_b32 v1, v3
	v_cndmask_b32_e64 v4, 0, s4, vcc_lo
	s_mov_b32 s27, exec_lo
	s_delay_alu instid0(VALU_DEP_1) | instskip(SKIP_4) | instid1(VALU_DEP_1)
	v_lshl_add_u32 v4, v4, 2, 0
	s_waitcnt lgkmcnt(0)
	v_add_nc_u32_e32 v11, s26, v1
	ds_load_b32 v1, v4
	v_mul_hi_u32 v4, v11, s6
	v_add_nc_u32_e32 v4, v11, v4
	s_delay_alu instid0(VALU_DEP_1) | instskip(SKIP_1) | instid1(VALU_DEP_1)
	v_lshrrev_b32_e32 v4, s7, v4
	s_waitcnt lgkmcnt(0)
	v_mad_u64_u32 v[11:12], null, v4, s5, v[1:2]
	s_delay_alu instid0(VALU_DEP_1) | instskip(SKIP_1) | instid1(VALU_DEP_2)
	v_add_nc_u32_dpp v1, v11, v11 row_shr:1 row_mask:0xf bank_mask:0xf bound_ctrl:1
	v_add_nc_u32_e32 v11, s4, v10
	v_add_nc_u32_dpp v1, v1, v1 row_shr:2 row_mask:0xf bank_mask:0xf bound_ctrl:1
	s_delay_alu instid0(VALU_DEP_1) | instskip(NEXT) | instid1(VALU_DEP_1)
	v_add_nc_u32_dpp v1, v1, v1 row_shr:4 row_mask:0xf bank_mask:0xf bound_ctrl:1
	v_add_nc_u32_dpp v1, v1, v1 row_shr:8 row_mask:0xf bank_mask:0xf bound_ctrl:1
	ds_bpermute_b32 v4, v2, v1
	s_waitcnt lgkmcnt(0)
	v_cndmask_b32_e64 v4, 0, v4, s1
	s_delay_alu instid0(VALU_DEP_1)
	v_add_nc_u32_e32 v1, v1, v4
	v_cmpx_gt_i32_e64 s24, v11
	s_cbranch_execz .LBB26_32
; %bb.34:                               ;   in Loop: Header=BB26_33 Depth=1
	ds_store_b32 v3, v1
	s_branch .LBB26_32
.LBB26_35:
	s_set_inst_prefetch_distance 0x2
	v_add3_u32 v2, v10, s4, 0xffffffe1
	s_mov_b32 s1, exec_lo
	s_delay_alu instid0(VALU_DEP_1)
	v_cmpx_eq_u32_e64 s24, v2
	s_cbranch_execz .LBB26_37
; %bb.36:
	v_dual_mov_b32 v3, 0 :: v_dual_mov_b32 v2, s33
	global_store_b64 v3, v[1:2], s[28:29]
.LBB26_37:
	s_or_b32 exec_lo, exec_lo, s1
.LBB26_38:
	s_cmp_eq_u64 s[34:35], 0
	s_waitcnt lgkmcnt(0)
	s_waitcnt_vscnt null, 0x0
	s_barrier
	buffer_gl0_inv
	s_cbranch_scc1 .LBB26_43
; %bb.39:
	s_mul_i32 s3, s33, s8
	s_mov_b32 s4, exec_lo
	v_cmpx_gt_i32_e64 s3, v0
	s_cbranch_execz .LBB26_42
; %bb.40:
	v_add_co_u32 v1, s1, s12, v7
	s_delay_alu instid0(VALU_DEP_1) | instskip(SKIP_1) | instid1(VALU_DEP_1)
	v_add_co_ci_u32_e64 v2, null, s13, 0, s1
	v_add_co_u32 v3, s1, s34, v7
	v_add_co_ci_u32_e64 v4, null, s35, 0, s1
	v_mov_b32_e32 v11, v0
	s_mov_b32 s26, 0
	.p2align	6
.LBB26_41:                              ; =>This Inner Loop Header: Depth=1
	global_load_b32 v12, v[1:2], off
	v_add_nc_u32_e32 v11, 0x100, v11
	v_add_co_u32 v1, vcc_lo, 0x400, v1
	v_add_co_ci_u32_e32 v2, vcc_lo, 0, v2, vcc_lo
	s_delay_alu instid0(VALU_DEP_3) | instskip(SKIP_4) | instid1(VALU_DEP_1)
	v_cmp_le_i32_e32 vcc_lo, s3, v11
	s_or_b32 s26, vcc_lo, s26
	s_waitcnt vmcnt(0)
	global_store_b32 v[3:4], v12, off
	v_add_co_u32 v3, s1, 0x400, v3
	v_add_co_ci_u32_e64 v4, s1, 0, v4, s1
	s_and_not1_b32 exec_lo, exec_lo, s26
	s_cbranch_execnz .LBB26_41
.LBB26_42:
	s_or_b32 exec_lo, exec_lo, s4
	s_waitcnt_vscnt null, 0x0
	s_barrier
	buffer_gl0_inv
.LBB26_43:
	s_lshl_b32 s4, s24, 2
	v_cmp_gt_i32_e64 s1, s24, v0
	s_add_i32 s27, s4, 0
	s_mov_b32 s28, 0
	s_add_i32 s26, s27, 4
	s_delay_alu instid0(VALU_DEP_1)
	s_and_saveexec_b32 s29, s1
	s_cbranch_execz .LBB26_49
; %bb.44:
	v_dual_mov_b32 v2, 0 :: v_dual_mov_b32 v11, v0
	s_set_inst_prefetch_distance 0x1
	s_branch .LBB26_46
	.p2align	6
.LBB26_45:                              ;   in Loop: Header=BB26_46 Depth=1
	s_or_b32 exec_lo, exec_lo, s30
	v_add_nc_u32_e32 v11, 0x100, v11
	s_delay_alu instid0(VALU_DEP_1) | instskip(SKIP_1) | instid1(SALU_CYCLE_1)
	v_cmp_le_i32_e32 vcc_lo, s24, v11
	s_or_b32 s28, vcc_lo, s28
	s_and_not1_b32 exec_lo, exec_lo, s28
	s_cbranch_execz .LBB26_49
.LBB26_46:                              ; =>This Loop Header: Depth=1
                                        ;     Child Loop BB26_48 Depth 2
	s_delay_alu instid0(VALU_DEP_1) | instskip(SKIP_1) | instid1(VALU_DEP_1)
	v_lshlrev_b32_e32 v1, 2, v11
	s_mov_b32 s30, exec_lo
	v_add_nc_u32_e32 v3, 0, v1
	v_add_nc_u32_e32 v1, s26, v1
	ds_load_2addr_b32 v[3:4], v3 offset1:1
	s_waitcnt lgkmcnt(0)
	ds_store_b32 v1, v3
	v_cmpx_lt_i32_e64 v3, v4
	s_cbranch_execz .LBB26_45
; %bb.47:                               ;   in Loop: Header=BB26_46 Depth=1
	s_mov_b32 s31, 0
	.p2align	6
.LBB26_48:                              ;   Parent Loop BB26_46 Depth=1
                                        ; =>  This Inner Loop Header: Depth=2
	v_mul_hi_u32 v1, s6, v3
	s_delay_alu instid0(VALU_DEP_1) | instskip(SKIP_1) | instid1(VALU_DEP_2)
	v_add_nc_u32_e32 v1, v3, v1
	v_add_nc_u32_e32 v3, s5, v3
	v_lshrrev_b32_e32 v1, s7, v1
	s_delay_alu instid0(VALU_DEP_2) | instskip(NEXT) | instid1(VALU_DEP_2)
	v_cmp_ge_i32_e32 vcc_lo, v3, v4
	v_lshlrev_b64 v[12:13], 2, v[1:2]
	s_or_b32 s31, vcc_lo, s31
	s_delay_alu instid0(VALU_DEP_1) | instskip(NEXT) | instid1(VALU_DEP_1)
	v_add_co_u32 v12, s3, s22, v12
	v_add_co_ci_u32_e64 v13, s3, s23, v13, s3
	global_store_b32 v[12:13], v11, off
	s_and_not1_b32 exec_lo, exec_lo, s31
	s_cbranch_execnz .LBB26_48
	s_branch .LBB26_45
.LBB26_49:
	s_set_inst_prefetch_distance 0x2
	s_or_b32 exec_lo, exec_lo, s29
	s_add_i32 s3, s27, s4
	s_delay_alu instid0(SALU_CYCLE_1)
	v_dual_mov_b32 v1, s27 :: v_dual_mov_b32 v2, s3
	s_waitcnt lgkmcnt(0)
	s_waitcnt_vscnt null, 0x0
	s_barrier
	buffer_gl0_inv
	ds_load_b32 v1, v1
	s_and_not1_b32 vcc_lo, exec_lo, s40
	s_waitcnt lgkmcnt(0)
	ds_store_b32 v2, v1 offset:4
	s_cbranch_vccnz .LBB26_69
; %bb.50:
	s_sub_i32 s5, s37, s11
	s_add_u32 s11, s18, -4
	s_addc_u32 s27, s19, -1
	s_add_u32 s28, s14, -4
	s_addc_u32 s29, s15, -1
	v_dual_mov_b32 v14, 0 :: v_dual_and_b32 v1, 8, v10
	s_add_u32 s30, s20, -4
	s_addc_u32 s31, s21, -1
	s_lshl_b32 s35, s24, 3
	s_delay_alu instid0(VALU_DEP_1)
	v_cmp_eq_u32_e64 s4, 0, v1
	v_add3_u32 v5, v6, s35, v5
	v_mad_u64_u32 v[1:2], null, v0, s16, 0
	v_mad_u64_u32 v[3:4], null, v0, s9, 0
	v_mul_lo_u32 v12, s8, v8
	s_add_i32 s14, s35, 0
	s_mov_b32 s7, 0
	v_cmp_gt_i32_e32 vcc_lo, s39, v0
	v_cmp_gt_i32_e64 s3, s25, v8
	v_or_b32_e32 v10, 28, v7
	v_add3_u32 v11, s14, v7, 8
	v_add3_u32 v13, v5, 0, 8
	s_mov_b32 s6, s16
	s_mov_b32 s22, s9
	;; [unrolled: 1-line block ×3, first 2 shown]
	s_lshl_b32 s35, s24, 5
	s_lshl_b32 s34, s5, 2
	s_lshl_b64 s[14:15], s[6:7], 8
	s_sub_i32 s16, 0, s8
	s_lshl_b64 s[22:23], s[22:23], 8
	s_lshl_b32 s9, s8, 3
	s_add_i32 s35, s35, 32
	s_mov_b32 s40, s7
	s_branch .LBB26_52
.LBB26_51:                              ;   in Loop: Header=BB26_52 Depth=1
	s_or_b32 exec_lo, exec_lo, s41
	v_add_nc_u32_e32 v12, s39, v12
	s_add_i32 s40, s40, s25
	s_add_i32 s7, s7, s39
	s_cmp_ge_i32 s40, s33
	s_waitcnt lgkmcnt(0)
	s_waitcnt_vscnt null, 0x0
	s_barrier
	buffer_gl0_inv
	s_cbranch_scc1 .LBB26_69
.LBB26_52:                              ; =>This Loop Header: Depth=1
                                        ;     Child Loop BB26_54 Depth 2
                                        ;     Child Loop BB26_58 Depth 2
	;; [unrolled: 1-line block ×3, first 2 shown]
                                        ;       Child Loop BB26_67 Depth 3
	s_and_saveexec_b32 s41, s2
	s_cbranch_execz .LBB26_55
; %bb.53:                               ;   in Loop: Header=BB26_52 Depth=1
	v_dual_mov_b32 v6, v2 :: v_dual_mov_b32 v5, v1
	v_mov_b32_e32 v7, v11
	v_mov_b32_e32 v15, v0
	s_mov_b32 s42, 0
	.p2align	6
.LBB26_54:                              ;   Parent Loop BB26_52 Depth=1
                                        ; =>  This Inner Loop Header: Depth=2
	s_delay_alu instid0(VALU_DEP_1) | instskip(SKIP_2) | instid1(VALU_DEP_1)
	v_add_nc_u32_e32 v16, v15, v6
	v_add_nc_u32_e32 v15, 0x100, v15
	v_add_co_u32 v5, s5, v5, s14
	v_add_co_ci_u32_e64 v6, s5, s15, v6, s5
	s_delay_alu instid0(VALU_DEP_4) | instskip(NEXT) | instid1(VALU_DEP_4)
	v_lshrrev_b32_e32 v18, s17, v16
	v_cmp_le_i32_e64 s6, s36, v15
	s_delay_alu instid0(VALU_DEP_2) | instskip(SKIP_1) | instid1(VALU_DEP_3)
	v_mad_u64_u32 v[16:17], null, s34, v18, v[7:8]
	v_add_nc_u32_e32 v7, 0x400, v7
	s_or_b32 s42, s6, s42
	ds_store_b32 v16, v14
	s_and_not1_b32 exec_lo, exec_lo, s42
	s_cbranch_execnz .LBB26_54
.LBB26_55:                              ;   in Loop: Header=BB26_52 Depth=1
	s_or_b32 exec_lo, exec_lo, s41
	s_waitcnt lgkmcnt(0)
	s_barrier
	buffer_gl0_inv
	s_and_saveexec_b32 s41, vcc_lo
	s_cbranch_execz .LBB26_60
; %bb.56:                               ;   in Loop: Header=BB26_52 Depth=1
	v_dual_mov_b32 v6, v4 :: v_dual_mov_b32 v5, v3
	v_mov_b32_e32 v7, v0
	s_mov_b32 s42, 0
	s_set_inst_prefetch_distance 0x1
	s_branch .LBB26_58
	.p2align	6
.LBB26_57:                              ;   in Loop: Header=BB26_58 Depth=2
	s_or_b32 exec_lo, exec_lo, s6
	v_add_nc_u32_e32 v7, 0x100, v7
	v_add_co_u32 v5, s6, v5, s22
	s_delay_alu instid0(VALU_DEP_1) | instskip(NEXT) | instid1(VALU_DEP_3)
	v_add_co_ci_u32_e64 v6, s6, s23, v6, s6
	v_cmp_le_i32_e64 s5, s39, v7
	s_delay_alu instid0(VALU_DEP_1) | instskip(NEXT) | instid1(SALU_CYCLE_1)
	s_or_b32 s42, s5, s42
	s_and_not1_b32 exec_lo, exec_lo, s42
	s_cbranch_execz .LBB26_60
.LBB26_58:                              ;   Parent Loop BB26_52 Depth=1
                                        ; =>  This Inner Loop Header: Depth=2
	s_delay_alu instid0(VALU_DEP_1) | instskip(SKIP_1) | instid1(VALU_DEP_1)
	v_add_nc_u32_e32 v15, v7, v6
	s_mov_b32 s6, exec_lo
	v_lshrrev_b32_e32 v15, s10, v15
	s_delay_alu instid0(VALU_DEP_1) | instskip(NEXT) | instid1(VALU_DEP_1)
	v_add_nc_u32_e32 v16, s40, v15
	v_cmpx_gt_i32_e64 s33, v16
	s_cbranch_execz .LBB26_57
; %bb.59:                               ;   in Loop: Header=BB26_58 Depth=2
	v_add_nc_u32_e32 v16, s7, v7
	s_delay_alu instid0(VALU_DEP_1) | instskip(NEXT) | instid1(VALU_DEP_1)
	v_ashrrev_i32_e32 v17, 31, v16
	v_lshlrev_b64 v[16:17], 2, v[16:17]
	s_delay_alu instid0(VALU_DEP_1) | instskip(NEXT) | instid1(VALU_DEP_1)
	v_add_co_u32 v16, s5, s12, v16
	v_add_co_ci_u32_e64 v17, s5, s13, v17, s5
	global_load_b32 v16, v[16:17], off
	v_mul_lo_u32 v17, v15, s37
	v_mul_lo_u32 v15, s16, v15
	s_delay_alu instid0(VALU_DEP_2) | instskip(NEXT) | instid1(VALU_DEP_2)
	v_lshlrev_b32_e32 v17, 2, v17
	v_add3_u32 v15, v7, v15, 1
	s_waitcnt vmcnt(0)
	v_lshlrev_b32_e32 v16, 2, v16
	s_delay_alu instid0(VALU_DEP_1)
	v_add3_u32 v16, s38, v16, v17
	ds_store_b32 v16, v15
	s_branch .LBB26_57
.LBB26_60:                              ;   in Loop: Header=BB26_52 Depth=1
	s_set_inst_prefetch_distance 0x2
	s_or_b32 exec_lo, exec_lo, s41
	s_waitcnt lgkmcnt(0)
	s_barrier
	buffer_gl0_inv
	s_and_saveexec_b32 s41, s0
	s_cbranch_execz .LBB26_51
; %bb.61:                               ;   in Loop: Header=BB26_52 Depth=1
	v_mov_b32_e32 v5, v13
	v_mov_b32_e32 v6, v9
	s_mov_b32 s42, 0
	s_branch .LBB26_64
.LBB26_62:                              ;   in Loop: Header=BB26_64 Depth=2
	s_or_b32 exec_lo, exec_lo, s44
.LBB26_63:                              ;   in Loop: Header=BB26_64 Depth=2
	s_delay_alu instid0(SALU_CYCLE_1)
	s_or_b32 exec_lo, exec_lo, s43
	v_add_nc_u32_e32 v6, 32, v6
	v_add_nc_u32_e32 v5, 0x80, v5
	s_waitcnt lgkmcnt(0)
	ds_store_b32 v7, v15
	v_cmp_le_i32_e64 s5, s24, v6
	s_delay_alu instid0(VALU_DEP_1) | instskip(NEXT) | instid1(SALU_CYCLE_1)
	s_or_b32 s42, s5, s42
	s_and_not1_b32 exec_lo, exec_lo, s42
	s_cbranch_execz .LBB26_51
.LBB26_64:                              ;   Parent Loop BB26_52 Depth=1
                                        ; =>  This Loop Header: Depth=2
                                        ;       Child Loop BB26_67 Depth 3
	s_delay_alu instid0(VALU_DEP_1)
	v_lshl_add_u32 v7, v6, 2, 0
	ds_load_b32 v15, v7
	s_and_saveexec_b32 s43, s3
	s_cbranch_execz .LBB26_63
; %bb.65:                               ;   in Loop: Header=BB26_64 Depth=2
	v_dual_mov_b32 v16, v5 :: v_dual_mov_b32 v17, v12
	v_mov_b32_e32 v18, v8
	s_mov_b32 s44, 0
	s_branch .LBB26_67
.LBB26_66:                              ;   in Loop: Header=BB26_67 Depth=3
	s_or_b32 exec_lo, exec_lo, s6
	ds_bpermute_b32 v19, v10, v19
	v_add_nc_u32_e32 v18, 8, v18
	v_add_nc_u32_e32 v17, s9, v17
	;; [unrolled: 1-line block ×3, first 2 shown]
	s_delay_alu instid0(VALU_DEP_3) | instskip(NEXT) | instid1(VALU_DEP_1)
	v_cmp_le_i32_e64 s5, s25, v18
	s_or_b32 s44, s5, s44
	s_waitcnt lgkmcnt(0)
	v_add_nc_u32_e32 v15, v19, v15
	s_and_not1_b32 exec_lo, exec_lo, s44
	s_cbranch_execz .LBB26_62
.LBB26_67:                              ;   Parent Loop BB26_52 Depth=1
                                        ;     Parent Loop BB26_64 Depth=2
                                        ; =>    This Inner Loop Header: Depth=3
	ds_load_b32 v20, v16
	s_waitcnt lgkmcnt(0)
	v_cmp_ne_u32_e64 s5, 0, v20
	s_delay_alu instid0(VALU_DEP_1) | instskip(NEXT) | instid1(VALU_DEP_1)
	v_cndmask_b32_e64 v19, 0, 1, s5
	v_mov_b32_dpp v19, v19 row_shr:1 row_mask:0xf bank_mask:0xf bound_ctrl:1
	s_delay_alu instid0(VALU_DEP_1) | instskip(NEXT) | instid1(VALU_DEP_1)
	v_add_co_ci_u32_e64 v21, s6, 0, v19, s5
	v_mov_b32_dpp v21, v21 row_shr:2 row_mask:0xf bank_mask:0xf bound_ctrl:1
	s_delay_alu instid0(VALU_DEP_1) | instskip(NEXT) | instid1(VALU_DEP_1)
	v_add_co_ci_u32_e64 v19, s6, v21, v19, s5
	v_add_nc_u32_dpp v19, v19, v19 row_shr:4 row_mask:0xf bank_mask:0xf bound_ctrl:1
	s_delay_alu instid0(VALU_DEP_1) | instskip(NEXT) | instid1(VALU_DEP_1)
	v_add_nc_u32_dpp v19, v19, v19 row_shr:8 row_mask:0xf bank_mask:0xf bound_ctrl:1
	v_mov_b32_dpp v21, v19 row_share:7 row_mask:0xf bank_mask:0xf bound_ctrl:1
	s_delay_alu instid0(VALU_DEP_1) | instskip(NEXT) | instid1(VALU_DEP_1)
	v_cndmask_b32_e64 v21, v21, 0, s4
	v_sub_nc_u32_e32 v19, v19, v21
	s_and_saveexec_b32 s6, s5
	s_cbranch_execz .LBB26_66
; %bb.68:                               ;   in Loop: Header=BB26_67 Depth=3
	v_add_nc_u32_e32 v21, v17, v20
	v_add_nc_u32_e32 v23, s40, v18
	s_delay_alu instid0(VALU_DEP_2) | instskip(NEXT) | instid1(VALU_DEP_2)
	v_ashrrev_i32_e32 v22, 31, v21
	v_perm_b32 v23, v20, v23, 0x4020100
	s_delay_alu instid0(VALU_DEP_2) | instskip(NEXT) | instid1(VALU_DEP_2)
	v_lshlrev_b64 v[21:22], 2, v[21:22]
	v_add_nc_u32_e32 v25, 0xff000000, v23
	s_delay_alu instid0(VALU_DEP_2) | instskip(NEXT) | instid1(VALU_DEP_1)
	v_add_co_u32 v21, s5, s28, v21
	v_add_co_ci_u32_e64 v22, s5, s29, v22, s5
	global_load_b32 v24, v[21:22], off
	v_add_nc_u32_e32 v21, v19, v15
	s_delay_alu instid0(VALU_DEP_1) | instskip(NEXT) | instid1(VALU_DEP_1)
	v_ashrrev_i32_e32 v22, 31, v21
	v_lshlrev_b64 v[20:21], 2, v[21:22]
	s_delay_alu instid0(VALU_DEP_1) | instskip(NEXT) | instid1(VALU_DEP_1)
	v_add_co_u32 v22, s5, s11, v20
	v_add_co_ci_u32_e64 v23, s5, s27, v21, s5
	v_add_co_u32 v20, s5, s30, v20
	s_delay_alu instid0(VALU_DEP_1)
	v_add_co_ci_u32_e64 v21, s5, s31, v21, s5
	global_store_b32 v[22:23], v25, off
	s_waitcnt vmcnt(0)
	global_store_b32 v[20:21], v24, off
	s_branch .LBB26_66
.LBB26_69:
	s_and_saveexec_b32 s0, s1
	s_cbranch_execz .LBB26_75
; %bb.70:
	v_mov_b32_e32 v6, 0
	s_and_b32 s0, s33, 0xffffff
	s_lshl_b32 s1, s8, 24
	s_add_i32 s26, s26, 4
	s_or_b32 s1, s0, s1
	s_mov_b32 s2, 0
	s_set_inst_prefetch_distance 0x1
	s_branch .LBB26_72
	.p2align	6
.LBB26_71:                              ;   in Loop: Header=BB26_72 Depth=1
	s_or_b32 exec_lo, exec_lo, s3
	v_add_nc_u32_e32 v0, 0x100, v0
	s_delay_alu instid0(VALU_DEP_1) | instskip(SKIP_1) | instid1(SALU_CYCLE_1)
	v_cmp_le_i32_e32 vcc_lo, s24, v0
	s_or_b32 s2, vcc_lo, s2
	s_and_not1_b32 exec_lo, exec_lo, s2
	s_cbranch_execz .LBB26_75
.LBB26_72:                              ; =>This Loop Header: Depth=1
                                        ;     Child Loop BB26_74 Depth 2
	v_lshlrev_b32_e32 v1, 2, v0
	s_mov_b32 s3, exec_lo
	s_delay_alu instid0(VALU_DEP_1)
	v_add_nc_u32_e32 v2, 0, v1
	v_add_nc_u32_e32 v3, s26, v1
	ds_load_b32 v1, v2
	ds_load_b32 v7, v3
	s_waitcnt lgkmcnt(0)
	v_cmpx_lt_i32_e64 v1, v7
	s_cbranch_execz .LBB26_71
; %bb.73:                               ;   in Loop: Header=BB26_72 Depth=1
	v_ashrrev_i32_e32 v2, 31, v1
	s_mov_b32 s4, 0
	s_delay_alu instid0(VALU_DEP_1) | instskip(NEXT) | instid1(VALU_DEP_1)
	v_lshlrev_b64 v[4:5], 2, v[1:2]
	v_add_co_u32 v2, vcc_lo, s18, v4
	s_delay_alu instid0(VALU_DEP_2)
	v_add_co_ci_u32_e32 v3, vcc_lo, s19, v5, vcc_lo
	v_add_co_u32 v4, vcc_lo, s20, v4
	v_add_co_ci_u32_e32 v5, vcc_lo, s21, v5, vcc_lo
	.p2align	6
.LBB26_74:                              ;   Parent Loop BB26_72 Depth=1
                                        ; =>  This Inner Loop Header: Depth=2
	v_dual_mov_b32 v8, s1 :: v_dual_add_nc_u32 v1, 1, v1
	global_store_b32 v[4:5], v6, off
	v_add_co_u32 v4, vcc_lo, v4, 4
	v_add_co_ci_u32_e32 v5, vcc_lo, 0, v5, vcc_lo
	global_store_b32 v[2:3], v8, off
	v_cmp_ge_i32_e32 vcc_lo, v1, v7
	v_add_co_u32 v2, s0, v2, 4
	s_delay_alu instid0(VALU_DEP_1) | instskip(SKIP_1) | instid1(SALU_CYCLE_1)
	v_add_co_ci_u32_e64 v3, s0, 0, v3, s0
	s_or_b32 s4, vcc_lo, s4
	s_and_not1_b32 exec_lo, exec_lo, s4
	s_cbranch_execnz .LBB26_74
	s_branch .LBB26_71
.LBB26_75:
	s_set_inst_prefetch_distance 0x2
	s_nop 0
	s_sendmsg sendmsg(MSG_DEALLOC_VGPRS)
	s_endpgm
	.section	.rodata,"a",@progbits
	.p2align	6, 0x0
	.amdhsa_kernel _ZN5aiter22opus_moe_sorting_entryINS_16MoeSortingKernelINS_19MoeSortingProblemExIifLi4ELb0ELb0ELb1ELb1ELi0EEEEENS4_5KargsEEEvT0_
		.amdhsa_group_segment_fixed_size 0
		.amdhsa_private_segment_fixed_size 0
		.amdhsa_kernarg_size 400
		.amdhsa_user_sgpr_count 15
		.amdhsa_user_sgpr_dispatch_ptr 0
		.amdhsa_user_sgpr_queue_ptr 0
		.amdhsa_user_sgpr_kernarg_segment_ptr 1
		.amdhsa_user_sgpr_dispatch_id 0
		.amdhsa_user_sgpr_private_segment_size 0
		.amdhsa_wavefront_size32 1
		.amdhsa_uses_dynamic_stack 0
		.amdhsa_enable_private_segment 0
		.amdhsa_system_sgpr_workgroup_id_x 1
		.amdhsa_system_sgpr_workgroup_id_y 0
		.amdhsa_system_sgpr_workgroup_id_z 0
		.amdhsa_system_sgpr_workgroup_info 0
		.amdhsa_system_vgpr_workitem_id 0
		.amdhsa_next_free_vgpr 28
		.amdhsa_next_free_sgpr 45
		.amdhsa_reserve_vcc 1
		.amdhsa_float_round_mode_32 0
		.amdhsa_float_round_mode_16_64 0
		.amdhsa_float_denorm_mode_32 3
		.amdhsa_float_denorm_mode_16_64 3
		.amdhsa_dx10_clamp 1
		.amdhsa_ieee_mode 1
		.amdhsa_fp16_overflow 0
		.amdhsa_workgroup_processor_mode 1
		.amdhsa_memory_ordered 1
		.amdhsa_forward_progress 0
		.amdhsa_shared_vgpr_count 0
		.amdhsa_exception_fp_ieee_invalid_op 0
		.amdhsa_exception_fp_denorm_src 0
		.amdhsa_exception_fp_ieee_div_zero 0
		.amdhsa_exception_fp_ieee_overflow 0
		.amdhsa_exception_fp_ieee_underflow 0
		.amdhsa_exception_fp_ieee_inexact 0
		.amdhsa_exception_int_div_zero 0
	.end_amdhsa_kernel
	.section	.text._ZN5aiter22opus_moe_sorting_entryINS_16MoeSortingKernelINS_19MoeSortingProblemExIifLi4ELb0ELb0ELb1ELb1ELi0EEEEENS4_5KargsEEEvT0_,"axG",@progbits,_ZN5aiter22opus_moe_sorting_entryINS_16MoeSortingKernelINS_19MoeSortingProblemExIifLi4ELb0ELb0ELb1ELb1ELi0EEEEENS4_5KargsEEEvT0_,comdat
.Lfunc_end26:
	.size	_ZN5aiter22opus_moe_sorting_entryINS_16MoeSortingKernelINS_19MoeSortingProblemExIifLi4ELb0ELb0ELb1ELb1ELi0EEEEENS4_5KargsEEEvT0_, .Lfunc_end26-_ZN5aiter22opus_moe_sorting_entryINS_16MoeSortingKernelINS_19MoeSortingProblemExIifLi4ELb0ELb0ELb1ELb1ELi0EEEEENS4_5KargsEEEvT0_
                                        ; -- End function
	.section	.AMDGPU.csdata,"",@progbits
; Kernel info:
; codeLenInByte = 3744
; NumSgprs: 47
; NumVgprs: 28
; ScratchSize: 0
; MemoryBound: 0
; FloatMode: 240
; IeeeMode: 1
; LDSByteSize: 0 bytes/workgroup (compile time only)
; SGPRBlocks: 5
; VGPRBlocks: 3
; NumSGPRsForWavesPerEU: 47
; NumVGPRsForWavesPerEU: 28
; Occupancy: 16
; WaveLimiterHint : 1
; COMPUTE_PGM_RSRC2:SCRATCH_EN: 0
; COMPUTE_PGM_RSRC2:USER_SGPR: 15
; COMPUTE_PGM_RSRC2:TRAP_HANDLER: 0
; COMPUTE_PGM_RSRC2:TGID_X_EN: 1
; COMPUTE_PGM_RSRC2:TGID_Y_EN: 0
; COMPUTE_PGM_RSRC2:TGID_Z_EN: 0
; COMPUTE_PGM_RSRC2:TIDIG_COMP_CNT: 0
	.section	.text._ZN5aiter22opus_moe_sorting_entryINS_16MoeSortingKernelINS_19MoeSortingProblemExIifLi2ELb0ELb0ELb1ELb1ELi0EEEEENS4_5KargsEEEvT0_,"axG",@progbits,_ZN5aiter22opus_moe_sorting_entryINS_16MoeSortingKernelINS_19MoeSortingProblemExIifLi2ELb0ELb0ELb1ELb1ELi0EEEEENS4_5KargsEEEvT0_,comdat
	.protected	_ZN5aiter22opus_moe_sorting_entryINS_16MoeSortingKernelINS_19MoeSortingProblemExIifLi2ELb0ELb0ELb1ELb1ELi0EEEEENS4_5KargsEEEvT0_ ; -- Begin function _ZN5aiter22opus_moe_sorting_entryINS_16MoeSortingKernelINS_19MoeSortingProblemExIifLi2ELb0ELb0ELb1ELb1ELi0EEEEENS4_5KargsEEEvT0_
	.globl	_ZN5aiter22opus_moe_sorting_entryINS_16MoeSortingKernelINS_19MoeSortingProblemExIifLi2ELb0ELb0ELb1ELb1ELi0EEEEENS4_5KargsEEEvT0_
	.p2align	8
	.type	_ZN5aiter22opus_moe_sorting_entryINS_16MoeSortingKernelINS_19MoeSortingProblemExIifLi2ELb0ELb0ELb1ELb1ELi0EEEEENS4_5KargsEEEvT0_,@function
_ZN5aiter22opus_moe_sorting_entryINS_16MoeSortingKernelINS_19MoeSortingProblemExIifLi2ELb0ELb0ELb1ELb1ELi0EEEEENS4_5KargsEEEvT0_: ; @_ZN5aiter22opus_moe_sorting_entryINS_16MoeSortingKernelINS_19MoeSortingProblemExIifLi2ELb0ELb0ELb1ELb1ELi0EEEEENS4_5KargsEEEvT0_
; %bb.0:
	s_clause 0x3
	s_load_b256 s[16:23], s[0:1], 0x18
	s_load_b128 s[28:31], s[0:1], 0x38
	s_load_b64 s[34:35], s[0:1], 0x48
	s_load_b128 s[24:27], s[0:1], 0x54
	s_cmp_eq_u32 s15, 0
	s_waitcnt lgkmcnt(0)
	s_load_b32 s33, s[16:17], 0x0
	s_cbranch_scc1 .LBB27_7
; %bb.1:
	s_cmp_eq_u64 s[30:31], 0
	s_cbranch_scc1 .LBB27_6
; %bb.2:
	s_waitcnt lgkmcnt(0)
	s_ashr_i32 s2, s33, 31
	s_mul_i32 s3, s26, s25
	s_mul_hi_i32 s5, s26, s25
	s_mul_i32 s2, s3, s2
	s_mul_hi_u32 s4, s3, s33
	s_mul_i32 s5, s5, s33
	s_add_i32 s2, s4, s2
	s_mul_i32 s3, s3, s33
	s_add_i32 s4, s2, s5
	v_mov_b32_e32 v2, 0
	s_ashr_i32 s2, s4, 31
	s_mov_b32 s7, 0
	s_lshr_b32 s2, s2, 28
	s_delay_alu instid0(SALU_CYCLE_1) | instskip(SKIP_2) | instid1(SALU_CYCLE_1)
	s_add_u32 s2, s3, s2
	s_addc_u32 s3, s4, 0
	s_lshl_b32 s4, s15, 8
	v_add3_u32 v1, v0, s4, 0xffffff00
	s_ashr_i64 s[4:5], s[2:3], 4
	s_mov_b32 s3, exec_lo
	s_delay_alu instid0(VALU_DEP_1)
	v_cmpx_gt_i64_e64 s[4:5], v[1:2]
	s_cbranch_execz .LBB27_5
; %bb.3:
	s_load_b32 s2, s[0:1], 0x90
	v_lshlrev_b64 v[3:4], 4, v[1:2]
	v_dual_mov_b32 v6, v2 :: v_dual_mov_b32 v5, v1
	v_mov_b32_e32 v1, v2
	s_delay_alu instid0(VALU_DEP_3) | instskip(NEXT) | instid1(VALU_DEP_4)
	v_add_co_u32 v7, vcc_lo, s30, v3
	v_add_co_ci_u32_e32 v8, vcc_lo, s31, v4, vcc_lo
	v_mov_b32_e32 v3, v2
	v_mov_b32_e32 v4, v2
	s_waitcnt lgkmcnt(0)
	s_lshl_b32 s2, s2, 8
	s_delay_alu instid0(SALU_CYCLE_1) | instskip(NEXT) | instid1(SALU_CYCLE_1)
	s_add_i32 s6, s2, 0xffffff00
	s_lshl_b64 s[8:9], s[6:7], 4
.LBB27_4:                               ; =>This Inner Loop Header: Depth=1
	v_add_co_u32 v5, vcc_lo, v5, s6
	v_add_co_ci_u32_e32 v6, vcc_lo, 0, v6, vcc_lo
	global_store_b128 v[7:8], v[1:4], off
	v_add_co_u32 v7, s2, v7, s8
	v_cmp_le_i64_e32 vcc_lo, s[4:5], v[5:6]
	v_add_co_ci_u32_e64 v8, s2, s9, v8, s2
	s_or_b32 s7, vcc_lo, s7
	s_delay_alu instid0(SALU_CYCLE_1)
	s_and_not1_b32 exec_lo, exec_lo, s7
	s_cbranch_execnz .LBB27_4
.LBB27_5:
	s_or_b32 exec_lo, exec_lo, s3
.LBB27_6:
	s_cbranch_execz .LBB27_8
	s_branch .LBB27_75
.LBB27_7:
.LBB27_8:
	s_clause 0x1
	s_load_b256 s[4:11], s[0:1], 0x64
	s_load_b64 s[16:17], s[0:1], 0x84
	v_lshrrev_b32_e32 v1, 5, v0
	v_lshlrev_b32_e32 v7, 2, v0
	s_add_i32 s37, s24, 1
	s_delay_alu instid0(VALU_DEP_2) | instskip(SKIP_2) | instid1(SALU_CYCLE_1)
	v_readfirstlane_b32 s41, v1
	s_waitcnt lgkmcnt(0)
	s_add_i32 s25, s4, -2
	s_mul_i32 s36, s25, s24
	s_delay_alu instid0(SALU_CYCLE_1) | instskip(NEXT) | instid1(VALU_DEP_1)
	v_cmp_gt_i32_e64 s2, s36, v0
	s_and_saveexec_b32 s26, s2
	s_cbranch_execz .LBB27_11
; %bb.9:
	s_lshl_b32 s3, s24, 3
	v_mad_u64_u32 v[1:2], null, v0, s16, 0
	s_add_i32 s3, s3, 0
	v_dual_mov_b32 v4, 0 :: v_dual_mov_b32 v5, v0
	v_add3_u32 v3, s3, v7, 8
	s_mov_b32 s13, 0
	s_sub_i32 s14, s37, s11
	s_mov_b32 s12, s16
	s_lshl_b32 s27, s14, 2
	s_lshl_b64 s[14:15], s[12:13], 8
	.p2align	6
.LBB27_10:                              ; =>This Inner Loop Header: Depth=1
	v_add_nc_u32_e32 v6, v5, v2
	v_add_nc_u32_e32 v5, 0x100, v5
	v_add_co_u32 v1, vcc_lo, v1, s14
	v_add_co_ci_u32_e32 v2, vcc_lo, s15, v2, vcc_lo
	s_delay_alu instid0(VALU_DEP_4) | instskip(NEXT) | instid1(VALU_DEP_4)
	v_lshrrev_b32_e32 v6, s17, v6
	v_cmp_le_i32_e64 s3, s36, v5
	s_delay_alu instid0(VALU_DEP_2) | instskip(SKIP_1) | instid1(VALU_DEP_3)
	v_mad_u64_u32 v[8:9], null, s27, v6, v[3:4]
	v_add_nc_u32_e32 v3, 0x400, v3
	s_or_b32 s13, s3, s13
	ds_store_b32 v8, v4
	s_and_not1_b32 exec_lo, exec_lo, s13
	s_cbranch_execnz .LBB27_10
.LBB27_11:
	s_or_b32 exec_lo, exec_lo, s26
	s_load_b128 s[12:15], s[0:1], 0x0
	s_lshl_b32 s0, s37, 3
	s_mul_i32 s39, s8, s25
	s_add_i32 s38, s0, 0
	v_cmp_gt_i32_e32 vcc_lo, s39, v0
	s_cmp_gt_i32 s33, 0
	s_mov_b32 s27, 0
	s_cselect_b32 s40, -1, 0
	s_cmp_lt_i32 s33, 1
	s_waitcnt lgkmcnt(0)
	s_waitcnt_vscnt null, 0x0
	s_barrier
	buffer_gl0_inv
	s_cbranch_scc1 .LBB27_19
; %bb.12:
	v_mad_u64_u32 v[1:2], null, v0, s9, 0
	v_mov_b32_e32 v4, 0
	s_mov_b32 s26, s9
	s_mov_b32 s3, 0
	s_lshl_b64 s[30:31], s[26:27], 8
	s_branch .LBB27_14
.LBB27_13:                              ;   in Loop: Header=BB27_14 Depth=1
	s_set_inst_prefetch_distance 0x2
	s_or_b32 exec_lo, exec_lo, s26
	s_add_i32 s3, s3, s25
	s_add_i32 s27, s27, s39
	s_cmp_ge_i32 s3, s33
	s_waitcnt lgkmcnt(0)
	s_barrier
	buffer_gl0_inv
	s_cbranch_scc1 .LBB27_19
.LBB27_14:                              ; =>This Loop Header: Depth=1
                                        ;     Child Loop BB27_17 Depth 2
	s_and_saveexec_b32 s26, vcc_lo
	s_cbranch_execz .LBB27_13
; %bb.15:                               ;   in Loop: Header=BB27_14 Depth=1
	v_dual_mov_b32 v6, v2 :: v_dual_mov_b32 v5, v1
	v_mov_b32_e32 v8, v0
	s_mov_b32 s42, 0
	s_set_inst_prefetch_distance 0x1
	s_branch .LBB27_17
	.p2align	6
.LBB27_16:                              ;   in Loop: Header=BB27_17 Depth=2
	s_or_b32 exec_lo, exec_lo, s1
	v_add_nc_u32_e32 v8, 0x100, v8
	v_add_co_u32 v5, s1, v5, s30
	s_delay_alu instid0(VALU_DEP_1) | instskip(NEXT) | instid1(VALU_DEP_3)
	v_add_co_ci_u32_e64 v6, s1, s31, v6, s1
	v_cmp_le_i32_e64 s0, s39, v8
	s_waitcnt vmcnt(48) lgkmcnt(7)
	s_delay_alu instid0(VALU_DEP_1) | instskip(NEXT) | instid1(SALU_CYCLE_1)
	s_or_b32 s42, s0, s42
	s_and_not1_b32 exec_lo, exec_lo, s42
	s_cbranch_execz .LBB27_13
.LBB27_17:                              ;   Parent Loop BB27_14 Depth=1
                                        ; =>  This Inner Loop Header: Depth=2
	s_delay_alu instid0(VALU_DEP_1) | instskip(SKIP_1) | instid1(VALU_DEP_1)
	v_add_nc_u32_e32 v3, v8, v6
	s_mov_b32 s1, exec_lo
	v_lshrrev_b32_e32 v9, s10, v3
	s_delay_alu instid0(VALU_DEP_1) | instskip(NEXT) | instid1(VALU_DEP_1)
	v_add_nc_u32_e32 v3, s3, v9
	v_cmpx_gt_i32_e64 s33, v3
	s_cbranch_execz .LBB27_16
; %bb.18:                               ;   in Loop: Header=BB27_17 Depth=2
	v_add_nc_u32_e32 v3, s27, v8
	v_mul_lo_u32 v9, v9, s37
	s_delay_alu instid0(VALU_DEP_2) | instskip(NEXT) | instid1(VALU_DEP_2)
	v_lshlrev_b64 v[10:11], 2, v[3:4]
	v_lshlrev_b32_e32 v9, 2, v9
	s_delay_alu instid0(VALU_DEP_2) | instskip(NEXT) | instid1(VALU_DEP_1)
	v_add_co_u32 v10, s0, s12, v10
	v_add_co_ci_u32_e64 v11, s0, s13, v11, s0
	global_load_b32 v3, v[10:11], off
	s_waitcnt vmcnt(0)
	v_lshlrev_b32_e32 v3, 2, v3
	s_delay_alu instid0(VALU_DEP_1)
	v_add3_u32 v3, s38, v3, v9
	ds_load_b32 v9, v3
	s_waitcnt lgkmcnt(0)
	v_add_nc_u32_e32 v9, 1, v9
	ds_store_b32 v3, v9
	s_branch .LBB27_16
.LBB27_19:
	s_mov_b32 s0, exec_lo
	v_cmpx_eq_u32_e32 0, v0
	s_cbranch_execz .LBB27_21
; %bb.20:
	v_mov_b32_e32 v1, 0
	ds_store_b32 v1, v1
.LBB27_21:
	s_or_b32 exec_lo, exec_lo, s0
	v_and_b32_e32 v8, 7, v0
	v_lshrrev_b32_e32 v9, 3, v0
	v_mbcnt_lo_u32_b32 v10, -1, 0
	s_mov_b32 s26, 0
	s_delay_alu instid0(VALU_DEP_3) | instskip(NEXT) | instid1(VALU_DEP_3)
	v_mul_lo_u32 v1, s37, v8
	v_cmp_gt_i32_e64 s0, s24, v9
	v_lshlrev_b32_e32 v6, 2, v9
	s_delay_alu instid0(VALU_DEP_3) | instskip(NEXT) | instid1(VALU_DEP_3)
	v_lshlrev_b32_e32 v5, 2, v1
	s_and_saveexec_b32 s3, s0
	s_cbranch_execz .LBB27_29
; %bb.22:
	s_cmp_gt_i32 s4, 2
	s_mul_i32 s1, s24, 40
	s_cselect_b32 s4, -1, 0
	s_lshl_b32 s27, s24, 3
	v_dual_mov_b32 v12, v9 :: v_dual_lshlrev_b32 v3, 2, v10
	v_add3_u32 v4, v5, s1, v6
	v_add3_u32 v11, v5, s27, v6
	v_cmp_eq_u32_e64 s1, 0, v8
	s_delay_alu instid0(VALU_DEP_4)
	v_xor_b32_e32 v1, 4, v3
	v_xor_b32_e32 v2, 8, v3
	;; [unrolled: 1-line block ×3, first 2 shown]
	v_add3_u32 v4, v4, 0, 40
	v_add3_u32 v11, v11, 0, 8
	s_lshl_b32 s27, s24, 6
	s_delay_alu instid0(SALU_CYCLE_1)
	s_add_i32 s27, s27, 64
	s_branch .LBB27_24
.LBB27_23:                              ;   in Loop: Header=BB27_24 Depth=1
	s_or_b32 exec_lo, exec_lo, s30
	v_add_nc_u32_e32 v12, 32, v12
	v_add_nc_u32_e32 v4, 0x80, v4
	;; [unrolled: 1-line block ×3, first 2 shown]
	s_delay_alu instid0(VALU_DEP_3) | instskip(SKIP_1) | instid1(SALU_CYCLE_1)
	v_cmp_le_i32_e32 vcc_lo, s24, v12
	s_or_b32 s26, vcc_lo, s26
	s_and_not1_b32 exec_lo, exec_lo, s26
	s_cbranch_execz .LBB27_29
.LBB27_24:                              ; =>This Loop Header: Depth=1
                                        ;     Child Loop BB27_26 Depth 2
	v_mov_b32_e32 v13, 0
	s_and_not1_b32 vcc_lo, exec_lo, s4
	s_cbranch_vccnz .LBB27_27
; %bb.25:                               ;   in Loop: Header=BB27_24 Depth=1
	v_mov_b32_e32 v13, 0
	s_mov_b32 s30, 0
	s_mov_b32 s31, 0
	.p2align	6
.LBB27_26:                              ;   Parent Loop BB27_24 Depth=1
                                        ; =>  This Inner Loop Header: Depth=2
	v_add_nc_u32_e32 v14, s30, v11
	v_add_nc_u32_e32 v15, s30, v4
	s_add_i32 s31, s31, 16
	s_add_i32 s30, s30, s27
	s_cmp_lt_i32 s31, s25
	ds_load_b32 v14, v14
	ds_load_b32 v15, v15
	s_waitcnt lgkmcnt(1)
	ds_bpermute_b32 v16, v1, v14
	s_waitcnt lgkmcnt(1)
	ds_bpermute_b32 v17, v1, v15
	s_waitcnt lgkmcnt(1)
	v_add_nc_u32_e32 v14, v16, v14
	s_waitcnt lgkmcnt(0)
	v_add_nc_u32_e32 v15, v17, v15
	ds_bpermute_b32 v16, v2, v14
	ds_bpermute_b32 v17, v2, v15
	s_waitcnt lgkmcnt(1)
	v_add_nc_u32_e32 v14, v16, v14
	s_waitcnt lgkmcnt(0)
	v_add_nc_u32_e32 v15, v17, v15
	ds_bpermute_b32 v16, v3, v14
	ds_bpermute_b32 v17, v3, v15
	s_waitcnt lgkmcnt(1)
	v_add3_u32 v13, v14, v13, v16
	s_waitcnt lgkmcnt(0)
	s_delay_alu instid0(VALU_DEP_1)
	v_add3_u32 v13, v13, v15, v17
	s_cbranch_scc1 .LBB27_26
.LBB27_27:                              ;   in Loop: Header=BB27_24 Depth=1
	s_and_saveexec_b32 s30, s1
	s_cbranch_execz .LBB27_23
; %bb.28:                               ;   in Loop: Header=BB27_24 Depth=1
	v_lshl_add_u32 v14, v12, 2, 0
	ds_store_b32 v14, v13 offset:4
	s_branch .LBB27_23
.LBB27_29:
	s_or_b32 exec_lo, exec_lo, s3
	s_cmp_lg_u32 s41, 0
	s_mov_b32 s4, 0
	s_waitcnt lgkmcnt(0)
	s_barrier
	buffer_gl0_inv
	s_cbranch_scc1 .LBB27_38
; %bb.30:
	v_mov_b32_e32 v1, 0
	s_cmp_lt_i32 s24, 1
	s_cbranch_scc1 .LBB27_35
; %bb.31:
	v_lshlrev_b32_e32 v1, 2, v10
	v_cmp_eq_u32_e32 vcc_lo, 0, v10
	v_cmp_lt_u32_e64 s1, 15, v10
	s_add_i32 s26, s5, -1
	s_delay_alu instid0(VALU_DEP_3) | instskip(SKIP_1) | instid1(VALU_DEP_2)
	v_and_b32_e32 v2, 64, v1
	v_add3_u32 v3, v1, 0, 4
	v_add_nc_u32_e32 v2, -4, v2
	s_set_inst_prefetch_distance 0x1
	s_branch .LBB27_33
	.p2align	6
.LBB27_32:                              ;   in Loop: Header=BB27_33 Depth=1
	s_or_b32 exec_lo, exec_lo, s27
	v_add_nc_u32_e32 v3, 0x80, v3
	s_add_i32 s4, s4, 32
	s_waitcnt vmcnt(48) lgkmcnt(7)
	s_cmp_lt_i32 s4, s24
	s_cbranch_scc0 .LBB27_35
.LBB27_33:                              ; =>This Inner Loop Header: Depth=1
	ds_load_b32 v1, v3
	v_cndmask_b32_e64 v4, 0, s4, vcc_lo
	s_mov_b32 s27, exec_lo
	s_delay_alu instid0(VALU_DEP_1) | instskip(SKIP_4) | instid1(VALU_DEP_1)
	v_lshl_add_u32 v4, v4, 2, 0
	s_waitcnt lgkmcnt(0)
	v_add_nc_u32_e32 v11, s26, v1
	ds_load_b32 v1, v4
	v_mul_hi_u32 v4, v11, s6
	v_add_nc_u32_e32 v4, v11, v4
	s_delay_alu instid0(VALU_DEP_1) | instskip(SKIP_1) | instid1(VALU_DEP_1)
	v_lshrrev_b32_e32 v4, s7, v4
	s_waitcnt lgkmcnt(0)
	v_mad_u64_u32 v[11:12], null, v4, s5, v[1:2]
	s_delay_alu instid0(VALU_DEP_1) | instskip(SKIP_1) | instid1(VALU_DEP_2)
	v_add_nc_u32_dpp v1, v11, v11 row_shr:1 row_mask:0xf bank_mask:0xf bound_ctrl:1
	v_add_nc_u32_e32 v11, s4, v10
	v_add_nc_u32_dpp v1, v1, v1 row_shr:2 row_mask:0xf bank_mask:0xf bound_ctrl:1
	s_delay_alu instid0(VALU_DEP_1) | instskip(NEXT) | instid1(VALU_DEP_1)
	v_add_nc_u32_dpp v1, v1, v1 row_shr:4 row_mask:0xf bank_mask:0xf bound_ctrl:1
	v_add_nc_u32_dpp v1, v1, v1 row_shr:8 row_mask:0xf bank_mask:0xf bound_ctrl:1
	ds_bpermute_b32 v4, v2, v1
	s_waitcnt lgkmcnt(0)
	v_cndmask_b32_e64 v4, 0, v4, s1
	s_delay_alu instid0(VALU_DEP_1)
	v_add_nc_u32_e32 v1, v1, v4
	v_cmpx_gt_i32_e64 s24, v11
	s_cbranch_execz .LBB27_32
; %bb.34:                               ;   in Loop: Header=BB27_33 Depth=1
	ds_store_b32 v3, v1
	s_branch .LBB27_32
.LBB27_35:
	s_set_inst_prefetch_distance 0x2
	v_add3_u32 v2, v10, s4, 0xffffffe1
	s_mov_b32 s1, exec_lo
	s_delay_alu instid0(VALU_DEP_1)
	v_cmpx_eq_u32_e64 s24, v2
	s_cbranch_execz .LBB27_37
; %bb.36:
	v_dual_mov_b32 v3, 0 :: v_dual_mov_b32 v2, s33
	global_store_b64 v3, v[1:2], s[28:29]
.LBB27_37:
	s_or_b32 exec_lo, exec_lo, s1
.LBB27_38:
	s_cmp_eq_u64 s[34:35], 0
	s_waitcnt lgkmcnt(0)
	s_waitcnt_vscnt null, 0x0
	s_barrier
	buffer_gl0_inv
	s_cbranch_scc1 .LBB27_43
; %bb.39:
	s_mul_i32 s3, s33, s8
	s_mov_b32 s4, exec_lo
	v_cmpx_gt_i32_e64 s3, v0
	s_cbranch_execz .LBB27_42
; %bb.40:
	v_add_co_u32 v1, s1, s12, v7
	s_delay_alu instid0(VALU_DEP_1) | instskip(SKIP_1) | instid1(VALU_DEP_1)
	v_add_co_ci_u32_e64 v2, null, s13, 0, s1
	v_add_co_u32 v3, s1, s34, v7
	v_add_co_ci_u32_e64 v4, null, s35, 0, s1
	v_mov_b32_e32 v11, v0
	s_mov_b32 s26, 0
	.p2align	6
.LBB27_41:                              ; =>This Inner Loop Header: Depth=1
	global_load_b32 v12, v[1:2], off
	v_add_nc_u32_e32 v11, 0x100, v11
	v_add_co_u32 v1, vcc_lo, 0x400, v1
	v_add_co_ci_u32_e32 v2, vcc_lo, 0, v2, vcc_lo
	s_delay_alu instid0(VALU_DEP_3) | instskip(SKIP_4) | instid1(VALU_DEP_1)
	v_cmp_le_i32_e32 vcc_lo, s3, v11
	s_or_b32 s26, vcc_lo, s26
	s_waitcnt vmcnt(0)
	global_store_b32 v[3:4], v12, off
	v_add_co_u32 v3, s1, 0x400, v3
	v_add_co_ci_u32_e64 v4, s1, 0, v4, s1
	s_and_not1_b32 exec_lo, exec_lo, s26
	s_cbranch_execnz .LBB27_41
.LBB27_42:
	s_or_b32 exec_lo, exec_lo, s4
	s_waitcnt_vscnt null, 0x0
	s_barrier
	buffer_gl0_inv
.LBB27_43:
	s_lshl_b32 s4, s24, 2
	v_cmp_gt_i32_e64 s1, s24, v0
	s_add_i32 s27, s4, 0
	s_mov_b32 s28, 0
	s_add_i32 s26, s27, 4
	s_delay_alu instid0(VALU_DEP_1)
	s_and_saveexec_b32 s29, s1
	s_cbranch_execz .LBB27_49
; %bb.44:
	v_dual_mov_b32 v2, 0 :: v_dual_mov_b32 v11, v0
	s_set_inst_prefetch_distance 0x1
	s_branch .LBB27_46
	.p2align	6
.LBB27_45:                              ;   in Loop: Header=BB27_46 Depth=1
	s_or_b32 exec_lo, exec_lo, s30
	v_add_nc_u32_e32 v11, 0x100, v11
	s_delay_alu instid0(VALU_DEP_1) | instskip(SKIP_1) | instid1(SALU_CYCLE_1)
	v_cmp_le_i32_e32 vcc_lo, s24, v11
	s_or_b32 s28, vcc_lo, s28
	s_and_not1_b32 exec_lo, exec_lo, s28
	s_cbranch_execz .LBB27_49
.LBB27_46:                              ; =>This Loop Header: Depth=1
                                        ;     Child Loop BB27_48 Depth 2
	s_delay_alu instid0(VALU_DEP_1) | instskip(SKIP_1) | instid1(VALU_DEP_1)
	v_lshlrev_b32_e32 v1, 2, v11
	s_mov_b32 s30, exec_lo
	v_add_nc_u32_e32 v3, 0, v1
	v_add_nc_u32_e32 v1, s26, v1
	ds_load_2addr_b32 v[3:4], v3 offset1:1
	s_waitcnt lgkmcnt(0)
	ds_store_b32 v1, v3
	v_cmpx_lt_i32_e64 v3, v4
	s_cbranch_execz .LBB27_45
; %bb.47:                               ;   in Loop: Header=BB27_46 Depth=1
	s_mov_b32 s31, 0
	.p2align	6
.LBB27_48:                              ;   Parent Loop BB27_46 Depth=1
                                        ; =>  This Inner Loop Header: Depth=2
	v_mul_hi_u32 v1, s6, v3
	s_delay_alu instid0(VALU_DEP_1) | instskip(SKIP_1) | instid1(VALU_DEP_2)
	v_add_nc_u32_e32 v1, v3, v1
	v_add_nc_u32_e32 v3, s5, v3
	v_lshrrev_b32_e32 v1, s7, v1
	s_delay_alu instid0(VALU_DEP_2) | instskip(NEXT) | instid1(VALU_DEP_2)
	v_cmp_ge_i32_e32 vcc_lo, v3, v4
	v_lshlrev_b64 v[12:13], 2, v[1:2]
	s_or_b32 s31, vcc_lo, s31
	s_delay_alu instid0(VALU_DEP_1) | instskip(NEXT) | instid1(VALU_DEP_1)
	v_add_co_u32 v12, s3, s22, v12
	v_add_co_ci_u32_e64 v13, s3, s23, v13, s3
	global_store_b32 v[12:13], v11, off
	s_and_not1_b32 exec_lo, exec_lo, s31
	s_cbranch_execnz .LBB27_48
	s_branch .LBB27_45
.LBB27_49:
	s_set_inst_prefetch_distance 0x2
	s_or_b32 exec_lo, exec_lo, s29
	s_add_i32 s3, s27, s4
	s_delay_alu instid0(SALU_CYCLE_1)
	v_dual_mov_b32 v1, s27 :: v_dual_mov_b32 v2, s3
	s_waitcnt lgkmcnt(0)
	s_waitcnt_vscnt null, 0x0
	s_barrier
	buffer_gl0_inv
	ds_load_b32 v1, v1
	s_and_not1_b32 vcc_lo, exec_lo, s40
	s_waitcnt lgkmcnt(0)
	ds_store_b32 v2, v1 offset:4
	s_cbranch_vccnz .LBB27_69
; %bb.50:
	s_sub_i32 s5, s37, s11
	s_add_u32 s11, s18, -4
	s_addc_u32 s27, s19, -1
	s_add_u32 s28, s14, -4
	s_addc_u32 s29, s15, -1
	v_dual_mov_b32 v14, 0 :: v_dual_and_b32 v1, 8, v10
	s_add_u32 s30, s20, -4
	s_addc_u32 s31, s21, -1
	s_lshl_b32 s35, s24, 3
	s_delay_alu instid0(VALU_DEP_1)
	v_cmp_eq_u32_e64 s4, 0, v1
	v_add3_u32 v5, v5, s35, v6
	v_mad_u64_u32 v[1:2], null, v0, s16, 0
	v_mad_u64_u32 v[3:4], null, v0, s9, 0
	v_mul_lo_u32 v12, s8, v8
	s_add_i32 s14, s35, 0
	s_mov_b32 s7, 0
	v_cmp_gt_i32_e32 vcc_lo, s39, v0
	v_cmp_gt_i32_e64 s3, s25, v8
	v_or_b32_e32 v10, 28, v7
	v_add3_u32 v11, s14, v7, 8
	v_add3_u32 v13, v5, 0, 8
	s_mov_b32 s6, s16
	s_mov_b32 s22, s9
	;; [unrolled: 1-line block ×3, first 2 shown]
	s_lshl_b32 s35, s24, 5
	s_lshl_b32 s34, s5, 2
	s_lshl_b64 s[14:15], s[6:7], 8
	s_sub_i32 s16, 0, s8
	s_lshl_b64 s[22:23], s[22:23], 8
	s_lshl_b32 s9, s8, 3
	s_add_i32 s35, s35, 32
	s_mov_b32 s40, s7
	s_branch .LBB27_52
.LBB27_51:                              ;   in Loop: Header=BB27_52 Depth=1
	s_or_b32 exec_lo, exec_lo, s41
	v_add_nc_u32_e32 v12, s39, v12
	s_add_i32 s40, s40, s25
	s_add_i32 s7, s7, s39
	s_cmp_ge_i32 s40, s33
	s_waitcnt lgkmcnt(0)
	s_waitcnt_vscnt null, 0x0
	s_barrier
	buffer_gl0_inv
	s_cbranch_scc1 .LBB27_69
.LBB27_52:                              ; =>This Loop Header: Depth=1
                                        ;     Child Loop BB27_54 Depth 2
                                        ;     Child Loop BB27_58 Depth 2
	;; [unrolled: 1-line block ×3, first 2 shown]
                                        ;       Child Loop BB27_67 Depth 3
	s_and_saveexec_b32 s41, s2
	s_cbranch_execz .LBB27_55
; %bb.53:                               ;   in Loop: Header=BB27_52 Depth=1
	v_dual_mov_b32 v6, v2 :: v_dual_mov_b32 v5, v1
	v_mov_b32_e32 v7, v11
	v_mov_b32_e32 v15, v0
	s_mov_b32 s42, 0
	.p2align	6
.LBB27_54:                              ;   Parent Loop BB27_52 Depth=1
                                        ; =>  This Inner Loop Header: Depth=2
	s_delay_alu instid0(VALU_DEP_1) | instskip(SKIP_2) | instid1(VALU_DEP_1)
	v_add_nc_u32_e32 v16, v15, v6
	v_add_nc_u32_e32 v15, 0x100, v15
	v_add_co_u32 v5, s5, v5, s14
	v_add_co_ci_u32_e64 v6, s5, s15, v6, s5
	s_delay_alu instid0(VALU_DEP_4) | instskip(NEXT) | instid1(VALU_DEP_4)
	v_lshrrev_b32_e32 v18, s17, v16
	v_cmp_le_i32_e64 s6, s36, v15
	s_delay_alu instid0(VALU_DEP_2) | instskip(SKIP_1) | instid1(VALU_DEP_3)
	v_mad_u64_u32 v[16:17], null, s34, v18, v[7:8]
	v_add_nc_u32_e32 v7, 0x400, v7
	s_or_b32 s42, s6, s42
	ds_store_b32 v16, v14
	s_and_not1_b32 exec_lo, exec_lo, s42
	s_cbranch_execnz .LBB27_54
.LBB27_55:                              ;   in Loop: Header=BB27_52 Depth=1
	s_or_b32 exec_lo, exec_lo, s41
	s_waitcnt lgkmcnt(0)
	s_barrier
	buffer_gl0_inv
	s_and_saveexec_b32 s41, vcc_lo
	s_cbranch_execz .LBB27_60
; %bb.56:                               ;   in Loop: Header=BB27_52 Depth=1
	v_dual_mov_b32 v6, v4 :: v_dual_mov_b32 v5, v3
	v_mov_b32_e32 v7, v0
	s_mov_b32 s42, 0
	s_set_inst_prefetch_distance 0x1
	s_branch .LBB27_58
	.p2align	6
.LBB27_57:                              ;   in Loop: Header=BB27_58 Depth=2
	s_or_b32 exec_lo, exec_lo, s6
	v_add_nc_u32_e32 v7, 0x100, v7
	v_add_co_u32 v5, s6, v5, s22
	s_delay_alu instid0(VALU_DEP_1) | instskip(NEXT) | instid1(VALU_DEP_3)
	v_add_co_ci_u32_e64 v6, s6, s23, v6, s6
	v_cmp_le_i32_e64 s5, s39, v7
	s_delay_alu instid0(VALU_DEP_1) | instskip(NEXT) | instid1(SALU_CYCLE_1)
	s_or_b32 s42, s5, s42
	s_and_not1_b32 exec_lo, exec_lo, s42
	s_cbranch_execz .LBB27_60
.LBB27_58:                              ;   Parent Loop BB27_52 Depth=1
                                        ; =>  This Inner Loop Header: Depth=2
	s_delay_alu instid0(VALU_DEP_1) | instskip(SKIP_1) | instid1(VALU_DEP_1)
	v_add_nc_u32_e32 v15, v7, v6
	s_mov_b32 s6, exec_lo
	v_lshrrev_b32_e32 v15, s10, v15
	s_delay_alu instid0(VALU_DEP_1) | instskip(NEXT) | instid1(VALU_DEP_1)
	v_add_nc_u32_e32 v16, s40, v15
	v_cmpx_gt_i32_e64 s33, v16
	s_cbranch_execz .LBB27_57
; %bb.59:                               ;   in Loop: Header=BB27_58 Depth=2
	v_add_nc_u32_e32 v16, s7, v7
	s_delay_alu instid0(VALU_DEP_1) | instskip(NEXT) | instid1(VALU_DEP_1)
	v_ashrrev_i32_e32 v17, 31, v16
	v_lshlrev_b64 v[16:17], 2, v[16:17]
	s_delay_alu instid0(VALU_DEP_1) | instskip(NEXT) | instid1(VALU_DEP_1)
	v_add_co_u32 v16, s5, s12, v16
	v_add_co_ci_u32_e64 v17, s5, s13, v17, s5
	global_load_b32 v16, v[16:17], off
	v_mul_lo_u32 v17, v15, s37
	v_mul_lo_u32 v15, s16, v15
	s_delay_alu instid0(VALU_DEP_2) | instskip(NEXT) | instid1(VALU_DEP_2)
	v_lshlrev_b32_e32 v17, 2, v17
	v_add3_u32 v15, v7, v15, 1
	s_waitcnt vmcnt(0)
	v_lshlrev_b32_e32 v16, 2, v16
	s_delay_alu instid0(VALU_DEP_1)
	v_add3_u32 v16, s38, v16, v17
	ds_store_b32 v16, v15
	s_branch .LBB27_57
.LBB27_60:                              ;   in Loop: Header=BB27_52 Depth=1
	s_set_inst_prefetch_distance 0x2
	s_or_b32 exec_lo, exec_lo, s41
	s_waitcnt lgkmcnt(0)
	s_barrier
	buffer_gl0_inv
	s_and_saveexec_b32 s41, s0
	s_cbranch_execz .LBB27_51
; %bb.61:                               ;   in Loop: Header=BB27_52 Depth=1
	v_mov_b32_e32 v5, v13
	v_mov_b32_e32 v6, v9
	s_mov_b32 s42, 0
	s_branch .LBB27_64
.LBB27_62:                              ;   in Loop: Header=BB27_64 Depth=2
	s_or_b32 exec_lo, exec_lo, s44
.LBB27_63:                              ;   in Loop: Header=BB27_64 Depth=2
	s_delay_alu instid0(SALU_CYCLE_1)
	s_or_b32 exec_lo, exec_lo, s43
	v_add_nc_u32_e32 v6, 32, v6
	v_add_nc_u32_e32 v5, 0x80, v5
	s_waitcnt lgkmcnt(0)
	ds_store_b32 v7, v15
	v_cmp_le_i32_e64 s5, s24, v6
	s_delay_alu instid0(VALU_DEP_1) | instskip(NEXT) | instid1(SALU_CYCLE_1)
	s_or_b32 s42, s5, s42
	s_and_not1_b32 exec_lo, exec_lo, s42
	s_cbranch_execz .LBB27_51
.LBB27_64:                              ;   Parent Loop BB27_52 Depth=1
                                        ; =>  This Loop Header: Depth=2
                                        ;       Child Loop BB27_67 Depth 3
	s_delay_alu instid0(VALU_DEP_1)
	v_lshl_add_u32 v7, v6, 2, 0
	ds_load_b32 v15, v7
	s_and_saveexec_b32 s43, s3
	s_cbranch_execz .LBB27_63
; %bb.65:                               ;   in Loop: Header=BB27_64 Depth=2
	v_dual_mov_b32 v16, v5 :: v_dual_mov_b32 v17, v12
	v_mov_b32_e32 v18, v8
	s_mov_b32 s44, 0
	s_branch .LBB27_67
.LBB27_66:                              ;   in Loop: Header=BB27_67 Depth=3
	s_or_b32 exec_lo, exec_lo, s6
	ds_bpermute_b32 v19, v10, v19
	v_add_nc_u32_e32 v18, 8, v18
	v_add_nc_u32_e32 v17, s9, v17
	;; [unrolled: 1-line block ×3, first 2 shown]
	s_delay_alu instid0(VALU_DEP_3) | instskip(NEXT) | instid1(VALU_DEP_1)
	v_cmp_le_i32_e64 s5, s25, v18
	s_or_b32 s44, s5, s44
	s_waitcnt lgkmcnt(0)
	v_add_nc_u32_e32 v15, v19, v15
	s_and_not1_b32 exec_lo, exec_lo, s44
	s_cbranch_execz .LBB27_62
.LBB27_67:                              ;   Parent Loop BB27_52 Depth=1
                                        ;     Parent Loop BB27_64 Depth=2
                                        ; =>    This Inner Loop Header: Depth=3
	ds_load_b32 v20, v16
	s_waitcnt lgkmcnt(0)
	v_cmp_ne_u32_e64 s5, 0, v20
	s_delay_alu instid0(VALU_DEP_1) | instskip(NEXT) | instid1(VALU_DEP_1)
	v_cndmask_b32_e64 v19, 0, 1, s5
	v_mov_b32_dpp v19, v19 row_shr:1 row_mask:0xf bank_mask:0xf bound_ctrl:1
	s_delay_alu instid0(VALU_DEP_1) | instskip(NEXT) | instid1(VALU_DEP_1)
	v_add_co_ci_u32_e64 v21, s6, 0, v19, s5
	v_mov_b32_dpp v21, v21 row_shr:2 row_mask:0xf bank_mask:0xf bound_ctrl:1
	s_delay_alu instid0(VALU_DEP_1) | instskip(NEXT) | instid1(VALU_DEP_1)
	v_add_co_ci_u32_e64 v19, s6, v21, v19, s5
	v_add_nc_u32_dpp v19, v19, v19 row_shr:4 row_mask:0xf bank_mask:0xf bound_ctrl:1
	s_delay_alu instid0(VALU_DEP_1) | instskip(NEXT) | instid1(VALU_DEP_1)
	v_add_nc_u32_dpp v19, v19, v19 row_shr:8 row_mask:0xf bank_mask:0xf bound_ctrl:1
	v_mov_b32_dpp v21, v19 row_share:7 row_mask:0xf bank_mask:0xf bound_ctrl:1
	s_delay_alu instid0(VALU_DEP_1) | instskip(NEXT) | instid1(VALU_DEP_1)
	v_cndmask_b32_e64 v21, v21, 0, s4
	v_sub_nc_u32_e32 v19, v19, v21
	s_and_saveexec_b32 s6, s5
	s_cbranch_execz .LBB27_66
; %bb.68:                               ;   in Loop: Header=BB27_67 Depth=3
	v_add_nc_u32_e32 v21, v17, v20
	v_add_nc_u32_e32 v23, s40, v18
	s_delay_alu instid0(VALU_DEP_2) | instskip(NEXT) | instid1(VALU_DEP_2)
	v_ashrrev_i32_e32 v22, 31, v21
	v_perm_b32 v23, v20, v23, 0x4020100
	s_delay_alu instid0(VALU_DEP_2) | instskip(NEXT) | instid1(VALU_DEP_2)
	v_lshlrev_b64 v[21:22], 2, v[21:22]
	v_add_nc_u32_e32 v25, 0xff000000, v23
	s_delay_alu instid0(VALU_DEP_2) | instskip(NEXT) | instid1(VALU_DEP_1)
	v_add_co_u32 v21, s5, s28, v21
	v_add_co_ci_u32_e64 v22, s5, s29, v22, s5
	global_load_b32 v24, v[21:22], off
	v_add_nc_u32_e32 v21, v19, v15
	s_delay_alu instid0(VALU_DEP_1) | instskip(NEXT) | instid1(VALU_DEP_1)
	v_ashrrev_i32_e32 v22, 31, v21
	v_lshlrev_b64 v[20:21], 2, v[21:22]
	s_delay_alu instid0(VALU_DEP_1) | instskip(NEXT) | instid1(VALU_DEP_1)
	v_add_co_u32 v22, s5, s11, v20
	v_add_co_ci_u32_e64 v23, s5, s27, v21, s5
	v_add_co_u32 v20, s5, s30, v20
	s_delay_alu instid0(VALU_DEP_1)
	v_add_co_ci_u32_e64 v21, s5, s31, v21, s5
	global_store_b32 v[22:23], v25, off
	s_waitcnt vmcnt(0)
	global_store_b32 v[20:21], v24, off
	s_branch .LBB27_66
.LBB27_69:
	s_and_saveexec_b32 s0, s1
	s_cbranch_execz .LBB27_75
; %bb.70:
	v_mov_b32_e32 v6, 0
	s_and_b32 s0, s33, 0xffffff
	s_lshl_b32 s1, s8, 24
	s_add_i32 s26, s26, 4
	s_or_b32 s1, s0, s1
	s_mov_b32 s2, 0
	s_set_inst_prefetch_distance 0x1
	s_branch .LBB27_72
	.p2align	6
.LBB27_71:                              ;   in Loop: Header=BB27_72 Depth=1
	s_or_b32 exec_lo, exec_lo, s3
	v_add_nc_u32_e32 v0, 0x100, v0
	s_delay_alu instid0(VALU_DEP_1) | instskip(SKIP_1) | instid1(SALU_CYCLE_1)
	v_cmp_le_i32_e32 vcc_lo, s24, v0
	s_or_b32 s2, vcc_lo, s2
	s_and_not1_b32 exec_lo, exec_lo, s2
	s_cbranch_execz .LBB27_75
.LBB27_72:                              ; =>This Loop Header: Depth=1
                                        ;     Child Loop BB27_74 Depth 2
	v_lshlrev_b32_e32 v1, 2, v0
	s_mov_b32 s3, exec_lo
	s_delay_alu instid0(VALU_DEP_1)
	v_add_nc_u32_e32 v2, 0, v1
	v_add_nc_u32_e32 v3, s26, v1
	ds_load_b32 v1, v2
	ds_load_b32 v7, v3
	s_waitcnt lgkmcnt(0)
	v_cmpx_lt_i32_e64 v1, v7
	s_cbranch_execz .LBB27_71
; %bb.73:                               ;   in Loop: Header=BB27_72 Depth=1
	v_ashrrev_i32_e32 v2, 31, v1
	s_mov_b32 s4, 0
	s_delay_alu instid0(VALU_DEP_1) | instskip(NEXT) | instid1(VALU_DEP_1)
	v_lshlrev_b64 v[4:5], 2, v[1:2]
	v_add_co_u32 v2, vcc_lo, s18, v4
	s_delay_alu instid0(VALU_DEP_2)
	v_add_co_ci_u32_e32 v3, vcc_lo, s19, v5, vcc_lo
	v_add_co_u32 v4, vcc_lo, s20, v4
	v_add_co_ci_u32_e32 v5, vcc_lo, s21, v5, vcc_lo
	.p2align	6
.LBB27_74:                              ;   Parent Loop BB27_72 Depth=1
                                        ; =>  This Inner Loop Header: Depth=2
	v_dual_mov_b32 v8, s1 :: v_dual_add_nc_u32 v1, 1, v1
	global_store_b32 v[4:5], v6, off
	v_add_co_u32 v4, vcc_lo, v4, 4
	v_add_co_ci_u32_e32 v5, vcc_lo, 0, v5, vcc_lo
	global_store_b32 v[2:3], v8, off
	v_cmp_ge_i32_e32 vcc_lo, v1, v7
	v_add_co_u32 v2, s0, v2, 4
	s_delay_alu instid0(VALU_DEP_1) | instskip(SKIP_1) | instid1(SALU_CYCLE_1)
	v_add_co_ci_u32_e64 v3, s0, 0, v3, s0
	s_or_b32 s4, vcc_lo, s4
	s_and_not1_b32 exec_lo, exec_lo, s4
	s_cbranch_execnz .LBB27_74
	s_branch .LBB27_71
.LBB27_75:
	s_set_inst_prefetch_distance 0x2
	s_nop 0
	s_sendmsg sendmsg(MSG_DEALLOC_VGPRS)
	s_endpgm
	.section	.rodata,"a",@progbits
	.p2align	6, 0x0
	.amdhsa_kernel _ZN5aiter22opus_moe_sorting_entryINS_16MoeSortingKernelINS_19MoeSortingProblemExIifLi2ELb0ELb0ELb1ELb1ELi0EEEEENS4_5KargsEEEvT0_
		.amdhsa_group_segment_fixed_size 0
		.amdhsa_private_segment_fixed_size 0
		.amdhsa_kernarg_size 400
		.amdhsa_user_sgpr_count 15
		.amdhsa_user_sgpr_dispatch_ptr 0
		.amdhsa_user_sgpr_queue_ptr 0
		.amdhsa_user_sgpr_kernarg_segment_ptr 1
		.amdhsa_user_sgpr_dispatch_id 0
		.amdhsa_user_sgpr_private_segment_size 0
		.amdhsa_wavefront_size32 1
		.amdhsa_uses_dynamic_stack 0
		.amdhsa_enable_private_segment 0
		.amdhsa_system_sgpr_workgroup_id_x 1
		.amdhsa_system_sgpr_workgroup_id_y 0
		.amdhsa_system_sgpr_workgroup_id_z 0
		.amdhsa_system_sgpr_workgroup_info 0
		.amdhsa_system_vgpr_workitem_id 0
		.amdhsa_next_free_vgpr 26
		.amdhsa_next_free_sgpr 45
		.amdhsa_reserve_vcc 1
		.amdhsa_float_round_mode_32 0
		.amdhsa_float_round_mode_16_64 0
		.amdhsa_float_denorm_mode_32 3
		.amdhsa_float_denorm_mode_16_64 3
		.amdhsa_dx10_clamp 1
		.amdhsa_ieee_mode 1
		.amdhsa_fp16_overflow 0
		.amdhsa_workgroup_processor_mode 1
		.amdhsa_memory_ordered 1
		.amdhsa_forward_progress 0
		.amdhsa_shared_vgpr_count 0
		.amdhsa_exception_fp_ieee_invalid_op 0
		.amdhsa_exception_fp_denorm_src 0
		.amdhsa_exception_fp_ieee_div_zero 0
		.amdhsa_exception_fp_ieee_overflow 0
		.amdhsa_exception_fp_ieee_underflow 0
		.amdhsa_exception_fp_ieee_inexact 0
		.amdhsa_exception_int_div_zero 0
	.end_amdhsa_kernel
	.section	.text._ZN5aiter22opus_moe_sorting_entryINS_16MoeSortingKernelINS_19MoeSortingProblemExIifLi2ELb0ELb0ELb1ELb1ELi0EEEEENS4_5KargsEEEvT0_,"axG",@progbits,_ZN5aiter22opus_moe_sorting_entryINS_16MoeSortingKernelINS_19MoeSortingProblemExIifLi2ELb0ELb0ELb1ELb1ELi0EEEEENS4_5KargsEEEvT0_,comdat
.Lfunc_end27:
	.size	_ZN5aiter22opus_moe_sorting_entryINS_16MoeSortingKernelINS_19MoeSortingProblemExIifLi2ELb0ELb0ELb1ELb1ELi0EEEEENS4_5KargsEEEvT0_, .Lfunc_end27-_ZN5aiter22opus_moe_sorting_entryINS_16MoeSortingKernelINS_19MoeSortingProblemExIifLi2ELb0ELb0ELb1ELb1ELi0EEEEENS4_5KargsEEEvT0_
                                        ; -- End function
	.section	.AMDGPU.csdata,"",@progbits
; Kernel info:
; codeLenInByte = 3520
; NumSgprs: 47
; NumVgprs: 26
; ScratchSize: 0
; MemoryBound: 0
; FloatMode: 240
; IeeeMode: 1
; LDSByteSize: 0 bytes/workgroup (compile time only)
; SGPRBlocks: 5
; VGPRBlocks: 3
; NumSGPRsForWavesPerEU: 47
; NumVGPRsForWavesPerEU: 26
; Occupancy: 16
; WaveLimiterHint : 1
; COMPUTE_PGM_RSRC2:SCRATCH_EN: 0
; COMPUTE_PGM_RSRC2:USER_SGPR: 15
; COMPUTE_PGM_RSRC2:TRAP_HANDLER: 0
; COMPUTE_PGM_RSRC2:TGID_X_EN: 1
; COMPUTE_PGM_RSRC2:TGID_Y_EN: 0
; COMPUTE_PGM_RSRC2:TGID_Z_EN: 0
; COMPUTE_PGM_RSRC2:TIDIG_COMP_CNT: 0
	.section	.text._ZN5aiter22opus_moe_sorting_entryINS_16MoeSortingKernelINS_19MoeSortingProblemExIifLi1ELb0ELb0ELb1ELb1ELi0EEEEENS4_5KargsEEEvT0_,"axG",@progbits,_ZN5aiter22opus_moe_sorting_entryINS_16MoeSortingKernelINS_19MoeSortingProblemExIifLi1ELb0ELb0ELb1ELb1ELi0EEEEENS4_5KargsEEEvT0_,comdat
	.protected	_ZN5aiter22opus_moe_sorting_entryINS_16MoeSortingKernelINS_19MoeSortingProblemExIifLi1ELb0ELb0ELb1ELb1ELi0EEEEENS4_5KargsEEEvT0_ ; -- Begin function _ZN5aiter22opus_moe_sorting_entryINS_16MoeSortingKernelINS_19MoeSortingProblemExIifLi1ELb0ELb0ELb1ELb1ELi0EEEEENS4_5KargsEEEvT0_
	.globl	_ZN5aiter22opus_moe_sorting_entryINS_16MoeSortingKernelINS_19MoeSortingProblemExIifLi1ELb0ELb0ELb1ELb1ELi0EEEEENS4_5KargsEEEvT0_
	.p2align	8
	.type	_ZN5aiter22opus_moe_sorting_entryINS_16MoeSortingKernelINS_19MoeSortingProblemExIifLi1ELb0ELb0ELb1ELb1ELi0EEEEENS4_5KargsEEEvT0_,@function
_ZN5aiter22opus_moe_sorting_entryINS_16MoeSortingKernelINS_19MoeSortingProblemExIifLi1ELb0ELb0ELb1ELb1ELi0EEEEENS4_5KargsEEEvT0_: ; @_ZN5aiter22opus_moe_sorting_entryINS_16MoeSortingKernelINS_19MoeSortingProblemExIifLi1ELb0ELb0ELb1ELb1ELi0EEEEENS4_5KargsEEEvT0_
; %bb.0:
	s_clause 0x3
	s_load_b256 s[16:23], s[0:1], 0x18
	s_load_b128 s[28:31], s[0:1], 0x38
	s_load_b64 s[34:35], s[0:1], 0x48
	s_load_b128 s[24:27], s[0:1], 0x54
	s_cmp_eq_u32 s15, 0
	s_waitcnt lgkmcnt(0)
	s_load_b32 s33, s[16:17], 0x0
	s_cbranch_scc1 .LBB28_7
; %bb.1:
	s_cmp_eq_u64 s[30:31], 0
	s_cbranch_scc1 .LBB28_6
; %bb.2:
	s_waitcnt lgkmcnt(0)
	s_ashr_i32 s2, s33, 31
	s_mul_i32 s3, s26, s25
	s_mul_hi_i32 s5, s26, s25
	s_mul_i32 s2, s3, s2
	s_mul_hi_u32 s4, s3, s33
	s_mul_i32 s5, s5, s33
	s_add_i32 s2, s4, s2
	s_mul_i32 s3, s3, s33
	s_add_i32 s4, s2, s5
	v_mov_b32_e32 v2, 0
	s_ashr_i32 s2, s4, 31
	s_mov_b32 s7, 0
	s_lshr_b32 s2, s2, 28
	s_delay_alu instid0(SALU_CYCLE_1) | instskip(SKIP_2) | instid1(SALU_CYCLE_1)
	s_add_u32 s2, s3, s2
	s_addc_u32 s3, s4, 0
	s_lshl_b32 s4, s15, 8
	v_add3_u32 v1, v0, s4, 0xffffff00
	s_ashr_i64 s[4:5], s[2:3], 4
	s_mov_b32 s3, exec_lo
	s_delay_alu instid0(VALU_DEP_1)
	v_cmpx_gt_i64_e64 s[4:5], v[1:2]
	s_cbranch_execz .LBB28_5
; %bb.3:
	s_load_b32 s2, s[0:1], 0x90
	v_lshlrev_b64 v[3:4], 4, v[1:2]
	v_dual_mov_b32 v6, v2 :: v_dual_mov_b32 v5, v1
	v_mov_b32_e32 v1, v2
	s_delay_alu instid0(VALU_DEP_3) | instskip(NEXT) | instid1(VALU_DEP_4)
	v_add_co_u32 v7, vcc_lo, s30, v3
	v_add_co_ci_u32_e32 v8, vcc_lo, s31, v4, vcc_lo
	v_mov_b32_e32 v3, v2
	v_mov_b32_e32 v4, v2
	s_waitcnt lgkmcnt(0)
	s_lshl_b32 s2, s2, 8
	s_delay_alu instid0(SALU_CYCLE_1) | instskip(NEXT) | instid1(SALU_CYCLE_1)
	s_add_i32 s6, s2, 0xffffff00
	s_lshl_b64 s[8:9], s[6:7], 4
.LBB28_4:                               ; =>This Inner Loop Header: Depth=1
	v_add_co_u32 v5, vcc_lo, v5, s6
	v_add_co_ci_u32_e32 v6, vcc_lo, 0, v6, vcc_lo
	global_store_b128 v[7:8], v[1:4], off
	v_add_co_u32 v7, s2, v7, s8
	v_cmp_le_i64_e32 vcc_lo, s[4:5], v[5:6]
	v_add_co_ci_u32_e64 v8, s2, s9, v8, s2
	s_or_b32 s7, vcc_lo, s7
	s_delay_alu instid0(SALU_CYCLE_1)
	s_and_not1_b32 exec_lo, exec_lo, s7
	s_cbranch_execnz .LBB28_4
.LBB28_5:
	s_or_b32 exec_lo, exec_lo, s3
.LBB28_6:
	s_cbranch_execz .LBB28_8
	s_branch .LBB28_75
.LBB28_7:
.LBB28_8:
	s_clause 0x1
	s_load_b256 s[4:11], s[0:1], 0x64
	s_load_b64 s[16:17], s[0:1], 0x84
	v_lshrrev_b32_e32 v1, 5, v0
	v_lshlrev_b32_e32 v7, 2, v0
	s_add_i32 s37, s24, 1
	s_delay_alu instid0(VALU_DEP_2) | instskip(SKIP_2) | instid1(SALU_CYCLE_1)
	v_readfirstlane_b32 s41, v1
	s_waitcnt lgkmcnt(0)
	s_add_i32 s25, s4, -2
	s_mul_i32 s36, s25, s24
	s_delay_alu instid0(SALU_CYCLE_1) | instskip(NEXT) | instid1(VALU_DEP_1)
	v_cmp_gt_i32_e64 s2, s36, v0
	s_and_saveexec_b32 s26, s2
	s_cbranch_execz .LBB28_11
; %bb.9:
	s_lshl_b32 s3, s24, 3
	v_mad_u64_u32 v[1:2], null, v0, s16, 0
	s_add_i32 s3, s3, 0
	v_dual_mov_b32 v4, 0 :: v_dual_mov_b32 v5, v0
	v_add3_u32 v3, s3, v7, 8
	s_mov_b32 s13, 0
	s_sub_i32 s14, s37, s11
	s_mov_b32 s12, s16
	s_lshl_b32 s27, s14, 2
	s_lshl_b64 s[14:15], s[12:13], 8
	.p2align	6
.LBB28_10:                              ; =>This Inner Loop Header: Depth=1
	v_add_nc_u32_e32 v6, v5, v2
	v_add_nc_u32_e32 v5, 0x100, v5
	v_add_co_u32 v1, vcc_lo, v1, s14
	v_add_co_ci_u32_e32 v2, vcc_lo, s15, v2, vcc_lo
	s_delay_alu instid0(VALU_DEP_4) | instskip(NEXT) | instid1(VALU_DEP_4)
	v_lshrrev_b32_e32 v6, s17, v6
	v_cmp_le_i32_e64 s3, s36, v5
	s_delay_alu instid0(VALU_DEP_2) | instskip(SKIP_1) | instid1(VALU_DEP_3)
	v_mad_u64_u32 v[8:9], null, s27, v6, v[3:4]
	v_add_nc_u32_e32 v3, 0x400, v3
	s_or_b32 s13, s3, s13
	ds_store_b32 v8, v4
	s_and_not1_b32 exec_lo, exec_lo, s13
	s_cbranch_execnz .LBB28_10
.LBB28_11:
	s_or_b32 exec_lo, exec_lo, s26
	s_load_b128 s[12:15], s[0:1], 0x0
	s_lshl_b32 s0, s37, 3
	s_mul_i32 s39, s8, s25
	s_add_i32 s38, s0, 0
	v_cmp_gt_i32_e32 vcc_lo, s39, v0
	s_cmp_gt_i32 s33, 0
	s_mov_b32 s27, 0
	s_cselect_b32 s40, -1, 0
	s_cmp_lt_i32 s33, 1
	s_waitcnt lgkmcnt(0)
	s_waitcnt_vscnt null, 0x0
	s_barrier
	buffer_gl0_inv
	s_cbranch_scc1 .LBB28_19
; %bb.12:
	v_mad_u64_u32 v[1:2], null, v0, s9, 0
	v_mov_b32_e32 v4, 0
	s_mov_b32 s26, s9
	s_mov_b32 s3, 0
	s_lshl_b64 s[30:31], s[26:27], 8
	s_branch .LBB28_14
.LBB28_13:                              ;   in Loop: Header=BB28_14 Depth=1
	s_set_inst_prefetch_distance 0x2
	s_or_b32 exec_lo, exec_lo, s26
	s_add_i32 s3, s3, s25
	s_add_i32 s27, s27, s39
	s_cmp_ge_i32 s3, s33
	s_waitcnt lgkmcnt(0)
	s_barrier
	buffer_gl0_inv
	s_cbranch_scc1 .LBB28_19
.LBB28_14:                              ; =>This Loop Header: Depth=1
                                        ;     Child Loop BB28_17 Depth 2
	s_and_saveexec_b32 s26, vcc_lo
	s_cbranch_execz .LBB28_13
; %bb.15:                               ;   in Loop: Header=BB28_14 Depth=1
	v_dual_mov_b32 v6, v2 :: v_dual_mov_b32 v5, v1
	v_mov_b32_e32 v8, v0
	s_mov_b32 s42, 0
	s_set_inst_prefetch_distance 0x1
	s_branch .LBB28_17
	.p2align	6
.LBB28_16:                              ;   in Loop: Header=BB28_17 Depth=2
	s_or_b32 exec_lo, exec_lo, s1
	v_add_nc_u32_e32 v8, 0x100, v8
	v_add_co_u32 v5, s1, v5, s30
	s_delay_alu instid0(VALU_DEP_1) | instskip(NEXT) | instid1(VALU_DEP_3)
	v_add_co_ci_u32_e64 v6, s1, s31, v6, s1
	v_cmp_le_i32_e64 s0, s39, v8
	s_waitcnt vmcnt(48) lgkmcnt(7)
	s_delay_alu instid0(VALU_DEP_1) | instskip(NEXT) | instid1(SALU_CYCLE_1)
	s_or_b32 s42, s0, s42
	s_and_not1_b32 exec_lo, exec_lo, s42
	s_cbranch_execz .LBB28_13
.LBB28_17:                              ;   Parent Loop BB28_14 Depth=1
                                        ; =>  This Inner Loop Header: Depth=2
	s_delay_alu instid0(VALU_DEP_1) | instskip(SKIP_1) | instid1(VALU_DEP_1)
	v_add_nc_u32_e32 v3, v8, v6
	s_mov_b32 s1, exec_lo
	v_lshrrev_b32_e32 v9, s10, v3
	s_delay_alu instid0(VALU_DEP_1) | instskip(NEXT) | instid1(VALU_DEP_1)
	v_add_nc_u32_e32 v3, s3, v9
	v_cmpx_gt_i32_e64 s33, v3
	s_cbranch_execz .LBB28_16
; %bb.18:                               ;   in Loop: Header=BB28_17 Depth=2
	v_add_nc_u32_e32 v3, s27, v8
	v_mul_lo_u32 v9, v9, s37
	s_delay_alu instid0(VALU_DEP_2) | instskip(NEXT) | instid1(VALU_DEP_2)
	v_lshlrev_b64 v[10:11], 2, v[3:4]
	v_lshlrev_b32_e32 v9, 2, v9
	s_delay_alu instid0(VALU_DEP_2) | instskip(NEXT) | instid1(VALU_DEP_1)
	v_add_co_u32 v10, s0, s12, v10
	v_add_co_ci_u32_e64 v11, s0, s13, v11, s0
	global_load_b32 v3, v[10:11], off
	s_waitcnt vmcnt(0)
	v_lshlrev_b32_e32 v3, 2, v3
	s_delay_alu instid0(VALU_DEP_1)
	v_add3_u32 v3, s38, v3, v9
	ds_load_b32 v9, v3
	s_waitcnt lgkmcnt(0)
	v_add_nc_u32_e32 v9, 1, v9
	ds_store_b32 v3, v9
	s_branch .LBB28_16
.LBB28_19:
	s_mov_b32 s0, exec_lo
	v_cmpx_eq_u32_e32 0, v0
	s_cbranch_execz .LBB28_21
; %bb.20:
	v_mov_b32_e32 v1, 0
	ds_store_b32 v1, v1
.LBB28_21:
	s_or_b32 exec_lo, exec_lo, s0
	v_and_b32_e32 v8, 7, v0
	v_lshrrev_b32_e32 v9, 3, v0
	v_mbcnt_lo_u32_b32 v10, -1, 0
	s_mov_b32 s26, 0
	s_delay_alu instid0(VALU_DEP_3) | instskip(NEXT) | instid1(VALU_DEP_3)
	v_mul_lo_u32 v1, s37, v8
	v_cmp_gt_i32_e64 s0, s24, v9
	v_lshlrev_b32_e32 v6, 2, v9
	s_delay_alu instid0(VALU_DEP_3) | instskip(NEXT) | instid1(VALU_DEP_3)
	v_lshlrev_b32_e32 v5, 2, v1
	s_and_saveexec_b32 s3, s0
	s_cbranch_execz .LBB28_29
; %bb.22:
	s_cmp_gt_i32 s4, 2
	v_lshlrev_b32_e32 v3, 2, v10
	s_cselect_b32 s4, -1, 0
	s_lshl_b32 s1, s24, 3
	v_mov_b32_e32 v11, v9
	v_add3_u32 v4, v5, s1, v6
	v_cmp_eq_u32_e64 s1, 0, v8
	v_xor_b32_e32 v1, 4, v3
	v_xor_b32_e32 v2, 8, v3
	;; [unrolled: 1-line block ×3, first 2 shown]
	v_add3_u32 v4, v4, 0, 8
	s_lshl_b32 s27, s24, 5
	s_delay_alu instid0(SALU_CYCLE_1)
	s_add_i32 s27, s27, 32
	s_set_inst_prefetch_distance 0x1
	s_branch .LBB28_24
	.p2align	6
.LBB28_23:                              ;   in Loop: Header=BB28_24 Depth=1
	s_or_b32 exec_lo, exec_lo, s30
	v_add_nc_u32_e32 v11, 32, v11
	v_add_nc_u32_e32 v4, 0x80, v4
	s_delay_alu instid0(VALU_DEP_2) | instskip(SKIP_1) | instid1(SALU_CYCLE_1)
	v_cmp_le_i32_e32 vcc_lo, s24, v11
	s_or_b32 s26, vcc_lo, s26
	s_and_not1_b32 exec_lo, exec_lo, s26
	s_cbranch_execz .LBB28_29
.LBB28_24:                              ; =>This Loop Header: Depth=1
                                        ;     Child Loop BB28_26 Depth 2
	v_mov_b32_e32 v12, 0
	s_and_not1_b32 vcc_lo, exec_lo, s4
	s_cbranch_vccnz .LBB28_27
; %bb.25:                               ;   in Loop: Header=BB28_24 Depth=1
	v_dual_mov_b32 v12, 0 :: v_dual_mov_b32 v13, v4
	s_mov_b32 s30, 0
.LBB28_26:                              ;   Parent Loop BB28_24 Depth=1
                                        ; =>  This Inner Loop Header: Depth=2
	ds_load_b32 v14, v13
	v_add_nc_u32_e32 v13, s27, v13
	s_add_i32 s30, s30, 8
	s_delay_alu instid0(SALU_CYCLE_1)
	s_cmp_ge_i32 s30, s25
	s_waitcnt lgkmcnt(0)
	ds_bpermute_b32 v15, v1, v14
	s_waitcnt lgkmcnt(0)
	v_add_nc_u32_e32 v14, v15, v14
	ds_bpermute_b32 v15, v2, v14
	s_waitcnt lgkmcnt(0)
	v_add_nc_u32_e32 v14, v15, v14
	ds_bpermute_b32 v15, v3, v14
	s_waitcnt lgkmcnt(0)
	v_add3_u32 v12, v14, v12, v15
	s_cbranch_scc0 .LBB28_26
.LBB28_27:                              ;   in Loop: Header=BB28_24 Depth=1
	s_and_saveexec_b32 s30, s1
	s_cbranch_execz .LBB28_23
; %bb.28:                               ;   in Loop: Header=BB28_24 Depth=1
	v_lshl_add_u32 v13, v11, 2, 0
	ds_store_b32 v13, v12 offset:4
	s_branch .LBB28_23
.LBB28_29:
	s_set_inst_prefetch_distance 0x2
	s_or_b32 exec_lo, exec_lo, s3
	s_cmp_lg_u32 s41, 0
	s_mov_b32 s4, 0
	s_waitcnt lgkmcnt(0)
	s_barrier
	buffer_gl0_inv
	s_cbranch_scc1 .LBB28_38
; %bb.30:
	v_mov_b32_e32 v1, 0
	s_cmp_lt_i32 s24, 1
	s_cbranch_scc1 .LBB28_35
; %bb.31:
	v_lshlrev_b32_e32 v1, 2, v10
	v_cmp_eq_u32_e32 vcc_lo, 0, v10
	v_cmp_lt_u32_e64 s1, 15, v10
	s_add_i32 s26, s5, -1
	s_delay_alu instid0(VALU_DEP_3) | instskip(SKIP_1) | instid1(VALU_DEP_2)
	v_and_b32_e32 v2, 64, v1
	v_add3_u32 v3, v1, 0, 4
	v_add_nc_u32_e32 v2, -4, v2
	s_set_inst_prefetch_distance 0x1
	s_branch .LBB28_33
	.p2align	6
.LBB28_32:                              ;   in Loop: Header=BB28_33 Depth=1
	s_or_b32 exec_lo, exec_lo, s27
	v_add_nc_u32_e32 v3, 0x80, v3
	s_add_i32 s4, s4, 32
	s_waitcnt vmcnt(48) lgkmcnt(7)
	s_cmp_lt_i32 s4, s24
	s_cbranch_scc0 .LBB28_35
.LBB28_33:                              ; =>This Inner Loop Header: Depth=1
	ds_load_b32 v1, v3
	v_cndmask_b32_e64 v4, 0, s4, vcc_lo
	s_mov_b32 s27, exec_lo
	s_delay_alu instid0(VALU_DEP_1) | instskip(SKIP_4) | instid1(VALU_DEP_1)
	v_lshl_add_u32 v4, v4, 2, 0
	s_waitcnt lgkmcnt(0)
	v_add_nc_u32_e32 v11, s26, v1
	ds_load_b32 v1, v4
	v_mul_hi_u32 v4, v11, s6
	v_add_nc_u32_e32 v4, v11, v4
	s_delay_alu instid0(VALU_DEP_1) | instskip(SKIP_1) | instid1(VALU_DEP_1)
	v_lshrrev_b32_e32 v4, s7, v4
	s_waitcnt lgkmcnt(0)
	v_mad_u64_u32 v[11:12], null, v4, s5, v[1:2]
	s_delay_alu instid0(VALU_DEP_1) | instskip(SKIP_1) | instid1(VALU_DEP_2)
	v_add_nc_u32_dpp v1, v11, v11 row_shr:1 row_mask:0xf bank_mask:0xf bound_ctrl:1
	v_add_nc_u32_e32 v11, s4, v10
	v_add_nc_u32_dpp v1, v1, v1 row_shr:2 row_mask:0xf bank_mask:0xf bound_ctrl:1
	s_delay_alu instid0(VALU_DEP_1) | instskip(NEXT) | instid1(VALU_DEP_1)
	v_add_nc_u32_dpp v1, v1, v1 row_shr:4 row_mask:0xf bank_mask:0xf bound_ctrl:1
	v_add_nc_u32_dpp v1, v1, v1 row_shr:8 row_mask:0xf bank_mask:0xf bound_ctrl:1
	ds_bpermute_b32 v4, v2, v1
	s_waitcnt lgkmcnt(0)
	v_cndmask_b32_e64 v4, 0, v4, s1
	s_delay_alu instid0(VALU_DEP_1)
	v_add_nc_u32_e32 v1, v1, v4
	v_cmpx_gt_i32_e64 s24, v11
	s_cbranch_execz .LBB28_32
; %bb.34:                               ;   in Loop: Header=BB28_33 Depth=1
	ds_store_b32 v3, v1
	s_branch .LBB28_32
.LBB28_35:
	s_set_inst_prefetch_distance 0x2
	v_add3_u32 v2, v10, s4, 0xffffffe1
	s_mov_b32 s1, exec_lo
	s_delay_alu instid0(VALU_DEP_1)
	v_cmpx_eq_u32_e64 s24, v2
	s_cbranch_execz .LBB28_37
; %bb.36:
	v_dual_mov_b32 v3, 0 :: v_dual_mov_b32 v2, s33
	global_store_b64 v3, v[1:2], s[28:29]
.LBB28_37:
	s_or_b32 exec_lo, exec_lo, s1
.LBB28_38:
	s_cmp_eq_u64 s[34:35], 0
	s_waitcnt lgkmcnt(0)
	s_waitcnt_vscnt null, 0x0
	s_barrier
	buffer_gl0_inv
	s_cbranch_scc1 .LBB28_43
; %bb.39:
	s_mul_i32 s3, s33, s8
	s_mov_b32 s4, exec_lo
	v_cmpx_gt_i32_e64 s3, v0
	s_cbranch_execz .LBB28_42
; %bb.40:
	v_add_co_u32 v1, s1, s12, v7
	s_delay_alu instid0(VALU_DEP_1) | instskip(SKIP_1) | instid1(VALU_DEP_1)
	v_add_co_ci_u32_e64 v2, null, s13, 0, s1
	v_add_co_u32 v3, s1, s34, v7
	v_add_co_ci_u32_e64 v4, null, s35, 0, s1
	v_mov_b32_e32 v11, v0
	s_mov_b32 s26, 0
	.p2align	6
.LBB28_41:                              ; =>This Inner Loop Header: Depth=1
	global_load_b32 v12, v[1:2], off
	v_add_nc_u32_e32 v11, 0x100, v11
	v_add_co_u32 v1, vcc_lo, 0x400, v1
	v_add_co_ci_u32_e32 v2, vcc_lo, 0, v2, vcc_lo
	s_delay_alu instid0(VALU_DEP_3) | instskip(SKIP_4) | instid1(VALU_DEP_1)
	v_cmp_le_i32_e32 vcc_lo, s3, v11
	s_or_b32 s26, vcc_lo, s26
	s_waitcnt vmcnt(0)
	global_store_b32 v[3:4], v12, off
	v_add_co_u32 v3, s1, 0x400, v3
	v_add_co_ci_u32_e64 v4, s1, 0, v4, s1
	s_and_not1_b32 exec_lo, exec_lo, s26
	s_cbranch_execnz .LBB28_41
.LBB28_42:
	s_or_b32 exec_lo, exec_lo, s4
	s_waitcnt_vscnt null, 0x0
	s_barrier
	buffer_gl0_inv
.LBB28_43:
	s_lshl_b32 s4, s24, 2
	v_cmp_gt_i32_e64 s1, s24, v0
	s_add_i32 s27, s4, 0
	s_mov_b32 s28, 0
	s_add_i32 s26, s27, 4
	s_delay_alu instid0(VALU_DEP_1)
	s_and_saveexec_b32 s29, s1
	s_cbranch_execz .LBB28_49
; %bb.44:
	v_dual_mov_b32 v2, 0 :: v_dual_mov_b32 v11, v0
	s_set_inst_prefetch_distance 0x1
	s_branch .LBB28_46
	.p2align	6
.LBB28_45:                              ;   in Loop: Header=BB28_46 Depth=1
	s_or_b32 exec_lo, exec_lo, s30
	v_add_nc_u32_e32 v11, 0x100, v11
	s_delay_alu instid0(VALU_DEP_1) | instskip(SKIP_1) | instid1(SALU_CYCLE_1)
	v_cmp_le_i32_e32 vcc_lo, s24, v11
	s_or_b32 s28, vcc_lo, s28
	s_and_not1_b32 exec_lo, exec_lo, s28
	s_cbranch_execz .LBB28_49
.LBB28_46:                              ; =>This Loop Header: Depth=1
                                        ;     Child Loop BB28_48 Depth 2
	s_delay_alu instid0(VALU_DEP_1) | instskip(SKIP_1) | instid1(VALU_DEP_1)
	v_lshlrev_b32_e32 v1, 2, v11
	s_mov_b32 s30, exec_lo
	v_add_nc_u32_e32 v3, 0, v1
	v_add_nc_u32_e32 v1, s26, v1
	ds_load_2addr_b32 v[3:4], v3 offset1:1
	s_waitcnt lgkmcnt(0)
	ds_store_b32 v1, v3
	v_cmpx_lt_i32_e64 v3, v4
	s_cbranch_execz .LBB28_45
; %bb.47:                               ;   in Loop: Header=BB28_46 Depth=1
	s_mov_b32 s31, 0
	.p2align	6
.LBB28_48:                              ;   Parent Loop BB28_46 Depth=1
                                        ; =>  This Inner Loop Header: Depth=2
	v_mul_hi_u32 v1, s6, v3
	s_delay_alu instid0(VALU_DEP_1) | instskip(SKIP_1) | instid1(VALU_DEP_2)
	v_add_nc_u32_e32 v1, v3, v1
	v_add_nc_u32_e32 v3, s5, v3
	v_lshrrev_b32_e32 v1, s7, v1
	s_delay_alu instid0(VALU_DEP_2) | instskip(NEXT) | instid1(VALU_DEP_2)
	v_cmp_ge_i32_e32 vcc_lo, v3, v4
	v_lshlrev_b64 v[12:13], 2, v[1:2]
	s_or_b32 s31, vcc_lo, s31
	s_delay_alu instid0(VALU_DEP_1) | instskip(NEXT) | instid1(VALU_DEP_1)
	v_add_co_u32 v12, s3, s22, v12
	v_add_co_ci_u32_e64 v13, s3, s23, v13, s3
	global_store_b32 v[12:13], v11, off
	s_and_not1_b32 exec_lo, exec_lo, s31
	s_cbranch_execnz .LBB28_48
	s_branch .LBB28_45
.LBB28_49:
	s_set_inst_prefetch_distance 0x2
	s_or_b32 exec_lo, exec_lo, s29
	s_add_i32 s3, s27, s4
	s_delay_alu instid0(SALU_CYCLE_1)
	v_dual_mov_b32 v1, s27 :: v_dual_mov_b32 v2, s3
	s_waitcnt lgkmcnt(0)
	s_waitcnt_vscnt null, 0x0
	s_barrier
	buffer_gl0_inv
	ds_load_b32 v1, v1
	s_and_not1_b32 vcc_lo, exec_lo, s40
	s_waitcnt lgkmcnt(0)
	ds_store_b32 v2, v1 offset:4
	s_cbranch_vccnz .LBB28_69
; %bb.50:
	s_sub_i32 s5, s37, s11
	s_add_u32 s11, s18, -4
	s_addc_u32 s27, s19, -1
	s_add_u32 s28, s14, -4
	s_addc_u32 s29, s15, -1
	v_dual_mov_b32 v14, 0 :: v_dual_and_b32 v1, 8, v10
	s_add_u32 s30, s20, -4
	s_addc_u32 s31, s21, -1
	s_lshl_b32 s35, s24, 3
	s_delay_alu instid0(VALU_DEP_1)
	v_cmp_eq_u32_e64 s4, 0, v1
	v_add3_u32 v5, v5, s35, v6
	v_mad_u64_u32 v[1:2], null, v0, s16, 0
	v_mad_u64_u32 v[3:4], null, v0, s9, 0
	v_mul_lo_u32 v12, s8, v8
	s_add_i32 s14, s35, 0
	s_mov_b32 s7, 0
	v_cmp_gt_i32_e32 vcc_lo, s39, v0
	v_cmp_gt_i32_e64 s3, s25, v8
	v_or_b32_e32 v10, 28, v7
	v_add3_u32 v11, s14, v7, 8
	v_add3_u32 v13, v5, 0, 8
	s_mov_b32 s6, s16
	s_mov_b32 s22, s9
	;; [unrolled: 1-line block ×3, first 2 shown]
	s_lshl_b32 s35, s24, 5
	s_lshl_b32 s34, s5, 2
	s_lshl_b64 s[14:15], s[6:7], 8
	s_sub_i32 s16, 0, s8
	s_lshl_b64 s[22:23], s[22:23], 8
	s_lshl_b32 s9, s8, 3
	s_add_i32 s35, s35, 32
	s_mov_b32 s40, s7
	s_branch .LBB28_52
.LBB28_51:                              ;   in Loop: Header=BB28_52 Depth=1
	s_or_b32 exec_lo, exec_lo, s41
	v_add_nc_u32_e32 v12, s39, v12
	s_add_i32 s40, s40, s25
	s_add_i32 s7, s7, s39
	s_cmp_ge_i32 s40, s33
	s_waitcnt lgkmcnt(0)
	s_waitcnt_vscnt null, 0x0
	s_barrier
	buffer_gl0_inv
	s_cbranch_scc1 .LBB28_69
.LBB28_52:                              ; =>This Loop Header: Depth=1
                                        ;     Child Loop BB28_54 Depth 2
                                        ;     Child Loop BB28_58 Depth 2
	;; [unrolled: 1-line block ×3, first 2 shown]
                                        ;       Child Loop BB28_67 Depth 3
	s_and_saveexec_b32 s41, s2
	s_cbranch_execz .LBB28_55
; %bb.53:                               ;   in Loop: Header=BB28_52 Depth=1
	v_dual_mov_b32 v6, v2 :: v_dual_mov_b32 v5, v1
	v_mov_b32_e32 v7, v11
	v_mov_b32_e32 v15, v0
	s_mov_b32 s42, 0
	.p2align	6
.LBB28_54:                              ;   Parent Loop BB28_52 Depth=1
                                        ; =>  This Inner Loop Header: Depth=2
	s_delay_alu instid0(VALU_DEP_1) | instskip(SKIP_2) | instid1(VALU_DEP_1)
	v_add_nc_u32_e32 v16, v15, v6
	v_add_nc_u32_e32 v15, 0x100, v15
	v_add_co_u32 v5, s5, v5, s14
	v_add_co_ci_u32_e64 v6, s5, s15, v6, s5
	s_delay_alu instid0(VALU_DEP_4) | instskip(NEXT) | instid1(VALU_DEP_4)
	v_lshrrev_b32_e32 v18, s17, v16
	v_cmp_le_i32_e64 s6, s36, v15
	s_delay_alu instid0(VALU_DEP_2) | instskip(SKIP_1) | instid1(VALU_DEP_3)
	v_mad_u64_u32 v[16:17], null, s34, v18, v[7:8]
	v_add_nc_u32_e32 v7, 0x400, v7
	s_or_b32 s42, s6, s42
	ds_store_b32 v16, v14
	s_and_not1_b32 exec_lo, exec_lo, s42
	s_cbranch_execnz .LBB28_54
.LBB28_55:                              ;   in Loop: Header=BB28_52 Depth=1
	s_or_b32 exec_lo, exec_lo, s41
	s_waitcnt lgkmcnt(0)
	s_barrier
	buffer_gl0_inv
	s_and_saveexec_b32 s41, vcc_lo
	s_cbranch_execz .LBB28_60
; %bb.56:                               ;   in Loop: Header=BB28_52 Depth=1
	v_dual_mov_b32 v6, v4 :: v_dual_mov_b32 v5, v3
	v_mov_b32_e32 v7, v0
	s_mov_b32 s42, 0
	s_set_inst_prefetch_distance 0x1
	s_branch .LBB28_58
	.p2align	6
.LBB28_57:                              ;   in Loop: Header=BB28_58 Depth=2
	s_or_b32 exec_lo, exec_lo, s6
	v_add_nc_u32_e32 v7, 0x100, v7
	v_add_co_u32 v5, s6, v5, s22
	s_delay_alu instid0(VALU_DEP_1) | instskip(NEXT) | instid1(VALU_DEP_3)
	v_add_co_ci_u32_e64 v6, s6, s23, v6, s6
	v_cmp_le_i32_e64 s5, s39, v7
	s_delay_alu instid0(VALU_DEP_1) | instskip(NEXT) | instid1(SALU_CYCLE_1)
	s_or_b32 s42, s5, s42
	s_and_not1_b32 exec_lo, exec_lo, s42
	s_cbranch_execz .LBB28_60
.LBB28_58:                              ;   Parent Loop BB28_52 Depth=1
                                        ; =>  This Inner Loop Header: Depth=2
	s_delay_alu instid0(VALU_DEP_1) | instskip(SKIP_1) | instid1(VALU_DEP_1)
	v_add_nc_u32_e32 v15, v7, v6
	s_mov_b32 s6, exec_lo
	v_lshrrev_b32_e32 v15, s10, v15
	s_delay_alu instid0(VALU_DEP_1) | instskip(NEXT) | instid1(VALU_DEP_1)
	v_add_nc_u32_e32 v16, s40, v15
	v_cmpx_gt_i32_e64 s33, v16
	s_cbranch_execz .LBB28_57
; %bb.59:                               ;   in Loop: Header=BB28_58 Depth=2
	v_add_nc_u32_e32 v16, s7, v7
	s_delay_alu instid0(VALU_DEP_1) | instskip(NEXT) | instid1(VALU_DEP_1)
	v_ashrrev_i32_e32 v17, 31, v16
	v_lshlrev_b64 v[16:17], 2, v[16:17]
	s_delay_alu instid0(VALU_DEP_1) | instskip(NEXT) | instid1(VALU_DEP_1)
	v_add_co_u32 v16, s5, s12, v16
	v_add_co_ci_u32_e64 v17, s5, s13, v17, s5
	global_load_b32 v16, v[16:17], off
	v_mul_lo_u32 v17, v15, s37
	v_mul_lo_u32 v15, s16, v15
	s_delay_alu instid0(VALU_DEP_2) | instskip(NEXT) | instid1(VALU_DEP_2)
	v_lshlrev_b32_e32 v17, 2, v17
	v_add3_u32 v15, v7, v15, 1
	s_waitcnt vmcnt(0)
	v_lshlrev_b32_e32 v16, 2, v16
	s_delay_alu instid0(VALU_DEP_1)
	v_add3_u32 v16, s38, v16, v17
	ds_store_b32 v16, v15
	s_branch .LBB28_57
.LBB28_60:                              ;   in Loop: Header=BB28_52 Depth=1
	s_set_inst_prefetch_distance 0x2
	s_or_b32 exec_lo, exec_lo, s41
	s_waitcnt lgkmcnt(0)
	s_barrier
	buffer_gl0_inv
	s_and_saveexec_b32 s41, s0
	s_cbranch_execz .LBB28_51
; %bb.61:                               ;   in Loop: Header=BB28_52 Depth=1
	v_mov_b32_e32 v5, v13
	v_mov_b32_e32 v6, v9
	s_mov_b32 s42, 0
	s_branch .LBB28_64
.LBB28_62:                              ;   in Loop: Header=BB28_64 Depth=2
	s_or_b32 exec_lo, exec_lo, s44
.LBB28_63:                              ;   in Loop: Header=BB28_64 Depth=2
	s_delay_alu instid0(SALU_CYCLE_1)
	s_or_b32 exec_lo, exec_lo, s43
	v_add_nc_u32_e32 v6, 32, v6
	v_add_nc_u32_e32 v5, 0x80, v5
	s_waitcnt lgkmcnt(0)
	ds_store_b32 v7, v15
	v_cmp_le_i32_e64 s5, s24, v6
	s_delay_alu instid0(VALU_DEP_1) | instskip(NEXT) | instid1(SALU_CYCLE_1)
	s_or_b32 s42, s5, s42
	s_and_not1_b32 exec_lo, exec_lo, s42
	s_cbranch_execz .LBB28_51
.LBB28_64:                              ;   Parent Loop BB28_52 Depth=1
                                        ; =>  This Loop Header: Depth=2
                                        ;       Child Loop BB28_67 Depth 3
	s_delay_alu instid0(VALU_DEP_1)
	v_lshl_add_u32 v7, v6, 2, 0
	ds_load_b32 v15, v7
	s_and_saveexec_b32 s43, s3
	s_cbranch_execz .LBB28_63
; %bb.65:                               ;   in Loop: Header=BB28_64 Depth=2
	v_dual_mov_b32 v16, v5 :: v_dual_mov_b32 v17, v12
	v_mov_b32_e32 v18, v8
	s_mov_b32 s44, 0
	s_branch .LBB28_67
.LBB28_66:                              ;   in Loop: Header=BB28_67 Depth=3
	s_or_b32 exec_lo, exec_lo, s6
	ds_bpermute_b32 v19, v10, v19
	v_add_nc_u32_e32 v18, 8, v18
	v_add_nc_u32_e32 v17, s9, v17
	;; [unrolled: 1-line block ×3, first 2 shown]
	s_delay_alu instid0(VALU_DEP_3) | instskip(NEXT) | instid1(VALU_DEP_1)
	v_cmp_le_i32_e64 s5, s25, v18
	s_or_b32 s44, s5, s44
	s_waitcnt lgkmcnt(0)
	v_add_nc_u32_e32 v15, v19, v15
	s_and_not1_b32 exec_lo, exec_lo, s44
	s_cbranch_execz .LBB28_62
.LBB28_67:                              ;   Parent Loop BB28_52 Depth=1
                                        ;     Parent Loop BB28_64 Depth=2
                                        ; =>    This Inner Loop Header: Depth=3
	ds_load_b32 v20, v16
	s_waitcnt lgkmcnt(0)
	v_cmp_ne_u32_e64 s5, 0, v20
	s_delay_alu instid0(VALU_DEP_1) | instskip(NEXT) | instid1(VALU_DEP_1)
	v_cndmask_b32_e64 v19, 0, 1, s5
	v_mov_b32_dpp v19, v19 row_shr:1 row_mask:0xf bank_mask:0xf bound_ctrl:1
	s_delay_alu instid0(VALU_DEP_1) | instskip(NEXT) | instid1(VALU_DEP_1)
	v_add_co_ci_u32_e64 v21, s6, 0, v19, s5
	v_mov_b32_dpp v21, v21 row_shr:2 row_mask:0xf bank_mask:0xf bound_ctrl:1
	s_delay_alu instid0(VALU_DEP_1) | instskip(NEXT) | instid1(VALU_DEP_1)
	v_add_co_ci_u32_e64 v19, s6, v21, v19, s5
	v_add_nc_u32_dpp v19, v19, v19 row_shr:4 row_mask:0xf bank_mask:0xf bound_ctrl:1
	s_delay_alu instid0(VALU_DEP_1) | instskip(NEXT) | instid1(VALU_DEP_1)
	v_add_nc_u32_dpp v19, v19, v19 row_shr:8 row_mask:0xf bank_mask:0xf bound_ctrl:1
	v_mov_b32_dpp v21, v19 row_share:7 row_mask:0xf bank_mask:0xf bound_ctrl:1
	s_delay_alu instid0(VALU_DEP_1) | instskip(NEXT) | instid1(VALU_DEP_1)
	v_cndmask_b32_e64 v21, v21, 0, s4
	v_sub_nc_u32_e32 v19, v19, v21
	s_and_saveexec_b32 s6, s5
	s_cbranch_execz .LBB28_66
; %bb.68:                               ;   in Loop: Header=BB28_67 Depth=3
	v_add_nc_u32_e32 v21, v17, v20
	v_add_nc_u32_e32 v23, s40, v18
	s_delay_alu instid0(VALU_DEP_2) | instskip(NEXT) | instid1(VALU_DEP_2)
	v_ashrrev_i32_e32 v22, 31, v21
	v_perm_b32 v23, v20, v23, 0x4020100
	s_delay_alu instid0(VALU_DEP_2) | instskip(NEXT) | instid1(VALU_DEP_2)
	v_lshlrev_b64 v[21:22], 2, v[21:22]
	v_add_nc_u32_e32 v25, 0xff000000, v23
	s_delay_alu instid0(VALU_DEP_2) | instskip(NEXT) | instid1(VALU_DEP_1)
	v_add_co_u32 v21, s5, s28, v21
	v_add_co_ci_u32_e64 v22, s5, s29, v22, s5
	global_load_b32 v24, v[21:22], off
	v_add_nc_u32_e32 v21, v19, v15
	s_delay_alu instid0(VALU_DEP_1) | instskip(NEXT) | instid1(VALU_DEP_1)
	v_ashrrev_i32_e32 v22, 31, v21
	v_lshlrev_b64 v[20:21], 2, v[21:22]
	s_delay_alu instid0(VALU_DEP_1) | instskip(NEXT) | instid1(VALU_DEP_1)
	v_add_co_u32 v22, s5, s11, v20
	v_add_co_ci_u32_e64 v23, s5, s27, v21, s5
	v_add_co_u32 v20, s5, s30, v20
	s_delay_alu instid0(VALU_DEP_1)
	v_add_co_ci_u32_e64 v21, s5, s31, v21, s5
	global_store_b32 v[22:23], v25, off
	s_waitcnt vmcnt(0)
	global_store_b32 v[20:21], v24, off
	s_branch .LBB28_66
.LBB28_69:
	s_and_saveexec_b32 s0, s1
	s_cbranch_execz .LBB28_75
; %bb.70:
	v_mov_b32_e32 v6, 0
	s_and_b32 s0, s33, 0xffffff
	s_lshl_b32 s1, s8, 24
	s_add_i32 s26, s26, 4
	s_or_b32 s1, s0, s1
	s_mov_b32 s2, 0
	s_set_inst_prefetch_distance 0x1
	s_branch .LBB28_72
	.p2align	6
.LBB28_71:                              ;   in Loop: Header=BB28_72 Depth=1
	s_or_b32 exec_lo, exec_lo, s3
	v_add_nc_u32_e32 v0, 0x100, v0
	s_delay_alu instid0(VALU_DEP_1) | instskip(SKIP_1) | instid1(SALU_CYCLE_1)
	v_cmp_le_i32_e32 vcc_lo, s24, v0
	s_or_b32 s2, vcc_lo, s2
	s_and_not1_b32 exec_lo, exec_lo, s2
	s_cbranch_execz .LBB28_75
.LBB28_72:                              ; =>This Loop Header: Depth=1
                                        ;     Child Loop BB28_74 Depth 2
	v_lshlrev_b32_e32 v1, 2, v0
	s_mov_b32 s3, exec_lo
	s_delay_alu instid0(VALU_DEP_1)
	v_add_nc_u32_e32 v2, 0, v1
	v_add_nc_u32_e32 v3, s26, v1
	ds_load_b32 v1, v2
	ds_load_b32 v7, v3
	s_waitcnt lgkmcnt(0)
	v_cmpx_lt_i32_e64 v1, v7
	s_cbranch_execz .LBB28_71
; %bb.73:                               ;   in Loop: Header=BB28_72 Depth=1
	v_ashrrev_i32_e32 v2, 31, v1
	s_mov_b32 s4, 0
	s_delay_alu instid0(VALU_DEP_1) | instskip(NEXT) | instid1(VALU_DEP_1)
	v_lshlrev_b64 v[4:5], 2, v[1:2]
	v_add_co_u32 v2, vcc_lo, s18, v4
	s_delay_alu instid0(VALU_DEP_2)
	v_add_co_ci_u32_e32 v3, vcc_lo, s19, v5, vcc_lo
	v_add_co_u32 v4, vcc_lo, s20, v4
	v_add_co_ci_u32_e32 v5, vcc_lo, s21, v5, vcc_lo
	.p2align	6
.LBB28_74:                              ;   Parent Loop BB28_72 Depth=1
                                        ; =>  This Inner Loop Header: Depth=2
	v_dual_mov_b32 v8, s1 :: v_dual_add_nc_u32 v1, 1, v1
	global_store_b32 v[4:5], v6, off
	v_add_co_u32 v4, vcc_lo, v4, 4
	v_add_co_ci_u32_e32 v5, vcc_lo, 0, v5, vcc_lo
	global_store_b32 v[2:3], v8, off
	v_cmp_ge_i32_e32 vcc_lo, v1, v7
	v_add_co_u32 v2, s0, v2, 4
	s_delay_alu instid0(VALU_DEP_1) | instskip(SKIP_1) | instid1(SALU_CYCLE_1)
	v_add_co_ci_u32_e64 v3, s0, 0, v3, s0
	s_or_b32 s4, vcc_lo, s4
	s_and_not1_b32 exec_lo, exec_lo, s4
	s_cbranch_execnz .LBB28_74
	s_branch .LBB28_71
.LBB28_75:
	s_set_inst_prefetch_distance 0x2
	s_nop 0
	s_sendmsg sendmsg(MSG_DEALLOC_VGPRS)
	s_endpgm
	.section	.rodata,"a",@progbits
	.p2align	6, 0x0
	.amdhsa_kernel _ZN5aiter22opus_moe_sorting_entryINS_16MoeSortingKernelINS_19MoeSortingProblemExIifLi1ELb0ELb0ELb1ELb1ELi0EEEEENS4_5KargsEEEvT0_
		.amdhsa_group_segment_fixed_size 0
		.amdhsa_private_segment_fixed_size 0
		.amdhsa_kernarg_size 400
		.amdhsa_user_sgpr_count 15
		.amdhsa_user_sgpr_dispatch_ptr 0
		.amdhsa_user_sgpr_queue_ptr 0
		.amdhsa_user_sgpr_kernarg_segment_ptr 1
		.amdhsa_user_sgpr_dispatch_id 0
		.amdhsa_user_sgpr_private_segment_size 0
		.amdhsa_wavefront_size32 1
		.amdhsa_uses_dynamic_stack 0
		.amdhsa_enable_private_segment 0
		.amdhsa_system_sgpr_workgroup_id_x 1
		.amdhsa_system_sgpr_workgroup_id_y 0
		.amdhsa_system_sgpr_workgroup_id_z 0
		.amdhsa_system_sgpr_workgroup_info 0
		.amdhsa_system_vgpr_workitem_id 0
		.amdhsa_next_free_vgpr 26
		.amdhsa_next_free_sgpr 45
		.amdhsa_reserve_vcc 1
		.amdhsa_float_round_mode_32 0
		.amdhsa_float_round_mode_16_64 0
		.amdhsa_float_denorm_mode_32 3
		.amdhsa_float_denorm_mode_16_64 3
		.amdhsa_dx10_clamp 1
		.amdhsa_ieee_mode 1
		.amdhsa_fp16_overflow 0
		.amdhsa_workgroup_processor_mode 1
		.amdhsa_memory_ordered 1
		.amdhsa_forward_progress 0
		.amdhsa_shared_vgpr_count 0
		.amdhsa_exception_fp_ieee_invalid_op 0
		.amdhsa_exception_fp_denorm_src 0
		.amdhsa_exception_fp_ieee_div_zero 0
		.amdhsa_exception_fp_ieee_overflow 0
		.amdhsa_exception_fp_ieee_underflow 0
		.amdhsa_exception_fp_ieee_inexact 0
		.amdhsa_exception_int_div_zero 0
	.end_amdhsa_kernel
	.section	.text._ZN5aiter22opus_moe_sorting_entryINS_16MoeSortingKernelINS_19MoeSortingProblemExIifLi1ELb0ELb0ELb1ELb1ELi0EEEEENS4_5KargsEEEvT0_,"axG",@progbits,_ZN5aiter22opus_moe_sorting_entryINS_16MoeSortingKernelINS_19MoeSortingProblemExIifLi1ELb0ELb0ELb1ELb1ELi0EEEEENS4_5KargsEEEvT0_,comdat
.Lfunc_end28:
	.size	_ZN5aiter22opus_moe_sorting_entryINS_16MoeSortingKernelINS_19MoeSortingProblemExIifLi1ELb0ELb0ELb1ELb1ELi0EEEEENS4_5KargsEEEvT0_, .Lfunc_end28-_ZN5aiter22opus_moe_sorting_entryINS_16MoeSortingKernelINS_19MoeSortingProblemExIifLi1ELb0ELb0ELb1ELb1ELi0EEEEENS4_5KargsEEEvT0_
                                        ; -- End function
	.section	.AMDGPU.csdata,"",@progbits
; Kernel info:
; codeLenInByte = 3424
; NumSgprs: 47
; NumVgprs: 26
; ScratchSize: 0
; MemoryBound: 0
; FloatMode: 240
; IeeeMode: 1
; LDSByteSize: 0 bytes/workgroup (compile time only)
; SGPRBlocks: 5
; VGPRBlocks: 3
; NumSGPRsForWavesPerEU: 47
; NumVGPRsForWavesPerEU: 26
; Occupancy: 16
; WaveLimiterHint : 1
; COMPUTE_PGM_RSRC2:SCRATCH_EN: 0
; COMPUTE_PGM_RSRC2:USER_SGPR: 15
; COMPUTE_PGM_RSRC2:TRAP_HANDLER: 0
; COMPUTE_PGM_RSRC2:TGID_X_EN: 1
; COMPUTE_PGM_RSRC2:TGID_Y_EN: 0
; COMPUTE_PGM_RSRC2:TGID_Z_EN: 0
; COMPUTE_PGM_RSRC2:TIDIG_COMP_CNT: 0
	.section	.text._ZN5aiter22opus_moe_sorting_entryINS_16MoeSortingKernelINS_19MoeSortingProblemExIifLi8ELb0ELb0ELb0ELb1ELi0EEEEENS4_5KargsEEEvT0_,"axG",@progbits,_ZN5aiter22opus_moe_sorting_entryINS_16MoeSortingKernelINS_19MoeSortingProblemExIifLi8ELb0ELb0ELb0ELb1ELi0EEEEENS4_5KargsEEEvT0_,comdat
	.protected	_ZN5aiter22opus_moe_sorting_entryINS_16MoeSortingKernelINS_19MoeSortingProblemExIifLi8ELb0ELb0ELb0ELb1ELi0EEEEENS4_5KargsEEEvT0_ ; -- Begin function _ZN5aiter22opus_moe_sorting_entryINS_16MoeSortingKernelINS_19MoeSortingProblemExIifLi8ELb0ELb0ELb0ELb1ELi0EEEEENS4_5KargsEEEvT0_
	.globl	_ZN5aiter22opus_moe_sorting_entryINS_16MoeSortingKernelINS_19MoeSortingProblemExIifLi8ELb0ELb0ELb0ELb1ELi0EEEEENS4_5KargsEEEvT0_
	.p2align	8
	.type	_ZN5aiter22opus_moe_sorting_entryINS_16MoeSortingKernelINS_19MoeSortingProblemExIifLi8ELb0ELb0ELb0ELb1ELi0EEEEENS4_5KargsEEEvT0_,@function
_ZN5aiter22opus_moe_sorting_entryINS_16MoeSortingKernelINS_19MoeSortingProblemExIifLi8ELb0ELb0ELb0ELb1ELi0EEEEENS4_5KargsEEEvT0_: ; @_ZN5aiter22opus_moe_sorting_entryINS_16MoeSortingKernelINS_19MoeSortingProblemExIifLi8ELb0ELb0ELb0ELb1ELi0EEEEENS4_5KargsEEEvT0_
; %bb.0:
	s_clause 0x1
	s_load_b256 s[16:23], s[0:1], 0x20
	s_load_b256 s[4:11], s[0:1], 0x40
	s_cmp_eq_u32 s15, 0
	s_cbranch_scc1 .LBB29_7
; %bb.1:
	s_waitcnt lgkmcnt(0)
	s_cmp_eq_u64 s[4:5], 0
	s_cbranch_scc1 .LBB29_6
; %bb.2:
	s_mul_i32 s2, s10, s8
	s_ashr_i32 s3, s11, 31
	s_mul_hi_u32 s12, s2, s11
	s_mul_i32 s3, s2, s3
	s_mul_hi_i32 s10, s10, s8
	s_add_i32 s3, s12, s3
	s_mul_i32 s10, s10, s11
	s_mul_i32 s2, s2, s11
	s_add_i32 s3, s3, s10
	v_mov_b32_e32 v2, 0
	s_ashr_i32 s10, s3, 31
	s_mov_b32 s13, 0
	s_lshr_b32 s10, s10, 28
	s_delay_alu instid0(SALU_CYCLE_1) | instskip(SKIP_2) | instid1(SALU_CYCLE_1)
	s_add_u32 s2, s2, s10
	s_addc_u32 s3, s3, 0
	s_lshl_b32 s10, s15, 8
	v_add3_u32 v1, v0, s10, 0xffffff00
	s_ashr_i64 s[10:11], s[2:3], 4
	s_mov_b32 s3, exec_lo
	s_delay_alu instid0(VALU_DEP_1)
	v_cmpx_gt_i64_e64 s[10:11], v[1:2]
	s_cbranch_execz .LBB29_5
; %bb.3:
	s_load_b32 s2, s[0:1], 0x90
	v_lshlrev_b64 v[3:4], 4, v[1:2]
	v_dual_mov_b32 v6, v2 :: v_dual_mov_b32 v5, v1
	v_mov_b32_e32 v1, v2
	s_delay_alu instid0(VALU_DEP_3) | instskip(NEXT) | instid1(VALU_DEP_4)
	v_add_co_u32 v7, vcc_lo, s4, v3
	v_add_co_ci_u32_e32 v8, vcc_lo, s5, v4, vcc_lo
	v_mov_b32_e32 v3, v2
	v_mov_b32_e32 v4, v2
	s_waitcnt lgkmcnt(0)
	s_lshl_b32 s2, s2, 8
	s_delay_alu instid0(SALU_CYCLE_1) | instskip(NEXT) | instid1(SALU_CYCLE_1)
	s_add_i32 s12, s2, 0xffffff00
	s_lshl_b64 s[4:5], s[12:13], 4
.LBB29_4:                               ; =>This Inner Loop Header: Depth=1
	v_add_co_u32 v5, vcc_lo, v5, s12
	v_add_co_ci_u32_e32 v6, vcc_lo, 0, v6, vcc_lo
	global_store_b128 v[7:8], v[1:4], off
	v_add_co_u32 v7, s2, v7, s4
	v_cmp_le_i64_e32 vcc_lo, s[10:11], v[5:6]
	v_add_co_ci_u32_e64 v8, s2, s5, v8, s2
	s_or_b32 s13, vcc_lo, s13
	s_delay_alu instid0(SALU_CYCLE_1)
	s_and_not1_b32 exec_lo, exec_lo, s13
	s_cbranch_execnz .LBB29_4
.LBB29_5:
	s_or_b32 exec_lo, exec_lo, s3
.LBB29_6:
	s_cbranch_execz .LBB29_8
	s_branch .LBB29_75
.LBB29_7:
.LBB29_8:
	s_load_b256 s[24:31], s[0:1], 0x64
	s_waitcnt lgkmcnt(0)
	s_load_b64 s[10:11], s[0:1], 0x84
	v_lshrrev_b32_e32 v1, 5, v0
	v_lshlrev_b32_e32 v7, 2, v0
	s_add_i32 s37, s9, 1
	s_delay_alu instid0(VALU_DEP_2) | instskip(SKIP_1) | instid1(SALU_CYCLE_1)
	v_readfirstlane_b32 s41, v1
	s_add_i32 s33, s24, -2
	s_mul_i32 s36, s33, s9
	s_delay_alu instid0(SALU_CYCLE_1) | instskip(NEXT) | instid1(VALU_DEP_1)
	v_cmp_gt_i32_e64 s2, s36, v0
	s_and_saveexec_b32 s14, s2
	s_cbranch_execz .LBB29_11
; %bb.9:
	s_lshl_b32 s3, s9, 3
	s_waitcnt lgkmcnt(0)
	v_mad_u64_u32 v[1:2], null, v0, s10, 0
	s_add_i32 s3, s3, 0
	v_dual_mov_b32 v4, 0 :: v_dual_mov_b32 v5, v0
	v_add3_u32 v3, s3, v7, 8
	s_mov_b32 s5, 0
	s_sub_i32 s12, s37, s31
	s_mov_b32 s4, s10
	s_lshl_b32 s15, s12, 2
	s_lshl_b64 s[12:13], s[4:5], 8
	.p2align	6
.LBB29_10:                              ; =>This Inner Loop Header: Depth=1
	v_add_nc_u32_e32 v6, v5, v2
	v_add_nc_u32_e32 v5, 0x100, v5
	v_add_co_u32 v1, vcc_lo, v1, s12
	v_add_co_ci_u32_e32 v2, vcc_lo, s13, v2, vcc_lo
	s_delay_alu instid0(VALU_DEP_4) | instskip(NEXT) | instid1(VALU_DEP_4)
	v_lshrrev_b32_e32 v6, s11, v6
	v_cmp_le_i32_e64 s3, s36, v5
	s_delay_alu instid0(VALU_DEP_2) | instskip(SKIP_1) | instid1(VALU_DEP_3)
	v_mad_u64_u32 v[8:9], null, s15, v6, v[3:4]
	v_add_nc_u32_e32 v3, 0x400, v3
	s_or_b32 s5, s3, s5
	ds_store_b32 v8, v4
	s_and_not1_b32 exec_lo, exec_lo, s5
	s_cbranch_execnz .LBB29_10
.LBB29_11:
	s_or_b32 exec_lo, exec_lo, s14
	s_load_b128 s[12:15], s[0:1], 0x0
	s_lshl_b32 s0, s37, 3
	s_mul_i32 s39, s28, s33
	s_add_i32 s38, s0, 0
	v_cmp_gt_i32_e32 vcc_lo, s39, v0
	s_cmp_gt_i32 s8, 0
	s_mov_b32 s5, 0
	s_cselect_b32 s40, -1, 0
	s_cmp_lt_i32 s8, 1
	s_waitcnt lgkmcnt(0)
	s_waitcnt_vscnt null, 0x0
	s_barrier
	buffer_gl0_inv
	s_cbranch_scc1 .LBB29_19
; %bb.12:
	v_mad_u64_u32 v[1:2], null, v0, s29, 0
	v_mov_b32_e32 v4, 0
	s_mov_b32 s4, s29
	s_mov_b32 s3, 0
	s_lshl_b64 s[34:35], s[4:5], 8
	s_branch .LBB29_14
.LBB29_13:                              ;   in Loop: Header=BB29_14 Depth=1
	s_set_inst_prefetch_distance 0x2
	s_or_b32 exec_lo, exec_lo, s4
	s_add_i32 s3, s3, s33
	s_add_i32 s5, s5, s39
	s_cmp_ge_i32 s3, s8
	s_waitcnt lgkmcnt(0)
	s_barrier
	buffer_gl0_inv
	s_cbranch_scc1 .LBB29_19
.LBB29_14:                              ; =>This Loop Header: Depth=1
                                        ;     Child Loop BB29_17 Depth 2
	s_and_saveexec_b32 s4, vcc_lo
	s_cbranch_execz .LBB29_13
; %bb.15:                               ;   in Loop: Header=BB29_14 Depth=1
	v_dual_mov_b32 v6, v2 :: v_dual_mov_b32 v5, v1
	v_mov_b32_e32 v8, v0
	s_mov_b32 s42, 0
	s_set_inst_prefetch_distance 0x1
	s_branch .LBB29_17
	.p2align	6
.LBB29_16:                              ;   in Loop: Header=BB29_17 Depth=2
	s_or_b32 exec_lo, exec_lo, s1
	v_add_nc_u32_e32 v8, 0x100, v8
	v_add_co_u32 v5, s1, v5, s34
	s_delay_alu instid0(VALU_DEP_1) | instskip(NEXT) | instid1(VALU_DEP_3)
	v_add_co_ci_u32_e64 v6, s1, s35, v6, s1
	v_cmp_le_i32_e64 s0, s39, v8
	s_waitcnt vmcnt(48) lgkmcnt(7)
	s_delay_alu instid0(VALU_DEP_1) | instskip(NEXT) | instid1(SALU_CYCLE_1)
	s_or_b32 s42, s0, s42
	s_and_not1_b32 exec_lo, exec_lo, s42
	s_cbranch_execz .LBB29_13
.LBB29_17:                              ;   Parent Loop BB29_14 Depth=1
                                        ; =>  This Inner Loop Header: Depth=2
	s_delay_alu instid0(VALU_DEP_1) | instskip(SKIP_1) | instid1(VALU_DEP_1)
	v_add_nc_u32_e32 v3, v8, v6
	s_mov_b32 s1, exec_lo
	v_lshrrev_b32_e32 v9, s30, v3
	s_delay_alu instid0(VALU_DEP_1) | instskip(NEXT) | instid1(VALU_DEP_1)
	v_add_nc_u32_e32 v3, s3, v9
	v_cmpx_gt_i32_e64 s8, v3
	s_cbranch_execz .LBB29_16
; %bb.18:                               ;   in Loop: Header=BB29_17 Depth=2
	v_add_nc_u32_e32 v3, s5, v8
	v_mul_lo_u32 v9, v9, s37
	s_delay_alu instid0(VALU_DEP_2) | instskip(NEXT) | instid1(VALU_DEP_2)
	v_lshlrev_b64 v[10:11], 2, v[3:4]
	v_lshlrev_b32_e32 v9, 2, v9
	s_delay_alu instid0(VALU_DEP_2) | instskip(NEXT) | instid1(VALU_DEP_1)
	v_add_co_u32 v10, s0, s12, v10
	v_add_co_ci_u32_e64 v11, s0, s13, v11, s0
	global_load_b32 v3, v[10:11], off
	s_waitcnt vmcnt(0)
	v_lshlrev_b32_e32 v3, 2, v3
	s_delay_alu instid0(VALU_DEP_1)
	v_add3_u32 v3, s38, v3, v9
	ds_load_b32 v9, v3
	s_waitcnt lgkmcnt(0)
	v_add_nc_u32_e32 v9, 1, v9
	ds_store_b32 v3, v9
	s_branch .LBB29_16
.LBB29_19:
	s_mov_b32 s0, exec_lo
	v_cmpx_eq_u32_e32 0, v0
	s_cbranch_execz .LBB29_21
; %bb.20:
	v_mov_b32_e32 v1, 0
	ds_store_b32 v1, v1
.LBB29_21:
	s_or_b32 exec_lo, exec_lo, s0
	v_and_b32_e32 v8, 7, v0
	v_lshrrev_b32_e32 v9, 3, v0
	v_mbcnt_lo_u32_b32 v10, -1, 0
	s_mov_b32 s4, 0
	s_delay_alu instid0(VALU_DEP_3) | instskip(NEXT) | instid1(VALU_DEP_3)
	v_mul_lo_u32 v1, s37, v8
	v_cmp_gt_i32_e64 s0, s9, v9
	v_lshlrev_b32_e32 v6, 2, v9
	s_delay_alu instid0(VALU_DEP_3) | instskip(NEXT) | instid1(VALU_DEP_3)
	v_lshlrev_b32_e32 v5, 2, v1
	s_and_saveexec_b32 s3, s0
	s_cbranch_execz .LBB29_29
; %bb.22:
	s_cmp_gt_i32 s24, 2
	v_lshlrev_b32_e32 v3, 2, v10
	s_cselect_b32 s5, -1, 0
	s_lshl_b32 s1, s9, 3
	v_mov_b32_e32 v11, v9
	v_add3_u32 v4, v5, s1, v6
	v_cmp_eq_u32_e64 s1, 0, v8
	v_xor_b32_e32 v1, 4, v3
	v_xor_b32_e32 v2, 8, v3
	;; [unrolled: 1-line block ×3, first 2 shown]
	v_add3_u32 v4, v4, 0, 8
	s_lshl_b32 s34, s9, 8
	s_lshl_b32 s24, s9, 5
	s_addk_i32 s34, 0x100
	s_add_i32 s35, s24, 32
	s_branch .LBB29_24
.LBB29_23:                              ;   in Loop: Header=BB29_24 Depth=1
	s_or_b32 exec_lo, exec_lo, s42
	v_add_nc_u32_e32 v11, 32, v11
	v_add_nc_u32_e32 v4, 0x80, v4
	s_delay_alu instid0(VALU_DEP_2) | instskip(SKIP_1) | instid1(SALU_CYCLE_1)
	v_cmp_le_i32_e32 vcc_lo, s9, v11
	s_or_b32 s4, vcc_lo, s4
	s_and_not1_b32 exec_lo, exec_lo, s4
	s_cbranch_execz .LBB29_29
.LBB29_24:                              ; =>This Loop Header: Depth=1
                                        ;     Child Loop BB29_26 Depth 2
	v_mov_b32_e32 v12, 0
	s_and_not1_b32 vcc_lo, exec_lo, s5
	s_cbranch_vccnz .LBB29_27
; %bb.25:                               ;   in Loop: Header=BB29_24 Depth=1
	v_dual_mov_b32 v12, 0 :: v_dual_mov_b32 v13, v4
	s_mov_b32 s42, 0
.LBB29_26:                              ;   Parent Loop BB29_24 Depth=1
                                        ; =>  This Inner Loop Header: Depth=2
	s_delay_alu instid0(VALU_DEP_1) | instskip(SKIP_2) | instid1(SALU_CYCLE_1)
	v_add_nc_u32_e32 v14, s24, v13
	ds_load_b32 v15, v13
	s_add_i32 s42, s42, 64
	s_cmp_lt_i32 s42, s33
	v_add_nc_u32_e32 v16, s35, v14
	ds_load_b32 v14, v14 offset:32
	v_add_nc_u32_e32 v17, s35, v16
	ds_load_b32 v16, v16 offset:32
	v_add_nc_u32_e32 v18, s35, v17
	ds_load_b32 v17, v17 offset:32
	v_add_nc_u32_e32 v13, s34, v13
	v_add_nc_u32_e32 v19, s35, v18
	s_waitcnt lgkmcnt(3)
	ds_bpermute_b32 v20, v1, v15
	ds_load_b32 v18, v18 offset:32
	ds_load_b32 v21, v19 offset:32
	v_add_nc_u32_e32 v19, s35, v19
	s_waitcnt lgkmcnt(5)
	ds_bpermute_b32 v22, v1, v14
	ds_load_b32 v24, v19 offset:32
	s_waitcnt lgkmcnt(6)
	ds_bpermute_b32 v23, v1, v16
	v_add_nc_u32_e32 v19, s35, v19
	s_waitcnt lgkmcnt(6)
	ds_bpermute_b32 v25, v1, v17
	ds_load_b32 v19, v19 offset:32
	s_waitcnt lgkmcnt(7)
	v_add_nc_u32_e32 v15, v20, v15
	s_waitcnt lgkmcnt(6)
	ds_bpermute_b32 v20, v1, v18
	ds_bpermute_b32 v26, v2, v15
	s_waitcnt lgkmcnt(6)
	v_add_nc_u32_e32 v14, v22, v14
	ds_bpermute_b32 v22, v1, v21
	s_waitcnt lgkmcnt(6)
	ds_bpermute_b32 v27, v1, v24
	s_waitcnt lgkmcnt(6)
	v_add_nc_u32_e32 v16, v23, v16
	ds_bpermute_b32 v23, v2, v14
	ds_bpermute_b32 v28, v2, v16
	s_waitcnt lgkmcnt(7)
	v_add_nc_u32_e32 v17, v25, v17
	s_waitcnt lgkmcnt(6)
	ds_bpermute_b32 v25, v1, v19
	ds_bpermute_b32 v29, v2, v17
	s_waitcnt lgkmcnt(7)
	v_add_nc_u32_e32 v18, v20, v18
	s_waitcnt lgkmcnt(6)
	v_add_nc_u32_e32 v15, v26, v15
	;; [unrolled: 2-line block ×3, first 2 shown]
	ds_bpermute_b32 v20, v2, v18
	ds_bpermute_b32 v22, v3, v15
	s_waitcnt lgkmcnt(5)
	v_add_nc_u32_e32 v14, v23, v14
	v_add_nc_u32_e32 v23, v27, v24
	ds_bpermute_b32 v24, v2, v21
	s_waitcnt lgkmcnt(5)
	v_add_nc_u32_e32 v16, v28, v16
	ds_bpermute_b32 v26, v3, v14
	ds_bpermute_b32 v27, v2, v23
	s_waitcnt lgkmcnt(6)
	v_add_nc_u32_e32 v19, v25, v19
	ds_bpermute_b32 v25, v3, v16
	s_waitcnt lgkmcnt(6)
	v_add_nc_u32_e32 v17, v29, v17
	ds_bpermute_b32 v28, v2, v19
	ds_bpermute_b32 v29, v3, v17
	s_waitcnt lgkmcnt(7)
	v_add_nc_u32_e32 v18, v20, v18
	s_waitcnt lgkmcnt(6)
	v_add3_u32 v12, v15, v12, v22
	s_waitcnt lgkmcnt(5)
	v_add_nc_u32_e32 v20, v24, v21
	ds_bpermute_b32 v15, v3, v18
	s_waitcnt lgkmcnt(5)
	v_add3_u32 v12, v12, v14, v26
	s_waitcnt lgkmcnt(4)
	v_add_nc_u32_e32 v14, v27, v23
	ds_bpermute_b32 v21, v3, v20
	s_waitcnt lgkmcnt(4)
	v_add3_u32 v12, v12, v16, v25
	ds_bpermute_b32 v16, v3, v14
	s_waitcnt lgkmcnt(4)
	v_add_nc_u32_e32 v19, v28, v19
	s_waitcnt lgkmcnt(3)
	v_add3_u32 v12, v12, v17, v29
	ds_bpermute_b32 v17, v3, v19
	s_waitcnt lgkmcnt(3)
	v_add3_u32 v12, v12, v18, v15
	s_waitcnt lgkmcnt(2)
	s_delay_alu instid0(VALU_DEP_1) | instskip(SKIP_1) | instid1(VALU_DEP_1)
	v_add3_u32 v12, v12, v20, v21
	s_waitcnt lgkmcnt(1)
	v_add3_u32 v12, v12, v14, v16
	s_waitcnt lgkmcnt(0)
	s_delay_alu instid0(VALU_DEP_1)
	v_add3_u32 v12, v12, v19, v17
	s_cbranch_scc1 .LBB29_26
.LBB29_27:                              ;   in Loop: Header=BB29_24 Depth=1
	s_and_saveexec_b32 s42, s1
	s_cbranch_execz .LBB29_23
; %bb.28:                               ;   in Loop: Header=BB29_24 Depth=1
	v_lshl_add_u32 v13, v11, 2, 0
	ds_store_b32 v13, v12 offset:4
	s_branch .LBB29_23
.LBB29_29:
	s_or_b32 exec_lo, exec_lo, s3
	s_cmp_lg_u32 s41, 0
	s_mov_b32 s4, 0
	s_waitcnt lgkmcnt(0)
	s_barrier
	buffer_gl0_inv
	s_cbranch_scc1 .LBB29_38
; %bb.30:
	v_mov_b32_e32 v1, 0
	s_cmp_lt_i32 s9, 1
	s_cbranch_scc1 .LBB29_35
; %bb.31:
	v_lshlrev_b32_e32 v1, 2, v10
	v_cmp_eq_u32_e32 vcc_lo, 0, v10
	v_cmp_lt_u32_e64 s1, 15, v10
	s_add_i32 s5, s25, -1
	s_delay_alu instid0(VALU_DEP_3) | instskip(SKIP_1) | instid1(VALU_DEP_2)
	v_and_b32_e32 v2, 64, v1
	v_add3_u32 v3, v1, 0, 4
	v_add_nc_u32_e32 v2, -4, v2
	s_set_inst_prefetch_distance 0x1
	s_branch .LBB29_33
	.p2align	6
.LBB29_32:                              ;   in Loop: Header=BB29_33 Depth=1
	s_or_b32 exec_lo, exec_lo, s24
	v_add_nc_u32_e32 v3, 0x80, v3
	s_add_i32 s4, s4, 32
	s_waitcnt vmcnt(48) lgkmcnt(7)
	s_cmp_lt_i32 s4, s9
	s_cbranch_scc0 .LBB29_35
.LBB29_33:                              ; =>This Inner Loop Header: Depth=1
	ds_load_b32 v1, v3
	v_cndmask_b32_e64 v4, 0, s4, vcc_lo
	s_mov_b32 s24, exec_lo
	s_delay_alu instid0(VALU_DEP_1) | instskip(SKIP_4) | instid1(VALU_DEP_1)
	v_lshl_add_u32 v4, v4, 2, 0
	s_waitcnt lgkmcnt(0)
	v_add_nc_u32_e32 v11, s5, v1
	ds_load_b32 v1, v4
	v_mul_hi_u32 v4, v11, s26
	v_add_nc_u32_e32 v4, v11, v4
	s_delay_alu instid0(VALU_DEP_1) | instskip(SKIP_1) | instid1(VALU_DEP_1)
	v_lshrrev_b32_e32 v4, s27, v4
	s_waitcnt lgkmcnt(0)
	v_mad_u64_u32 v[11:12], null, v4, s25, v[1:2]
	s_delay_alu instid0(VALU_DEP_1) | instskip(SKIP_1) | instid1(VALU_DEP_2)
	v_add_nc_u32_dpp v1, v11, v11 row_shr:1 row_mask:0xf bank_mask:0xf bound_ctrl:1
	v_add_nc_u32_e32 v11, s4, v10
	v_add_nc_u32_dpp v1, v1, v1 row_shr:2 row_mask:0xf bank_mask:0xf bound_ctrl:1
	s_delay_alu instid0(VALU_DEP_1) | instskip(NEXT) | instid1(VALU_DEP_1)
	v_add_nc_u32_dpp v1, v1, v1 row_shr:4 row_mask:0xf bank_mask:0xf bound_ctrl:1
	v_add_nc_u32_dpp v1, v1, v1 row_shr:8 row_mask:0xf bank_mask:0xf bound_ctrl:1
	ds_bpermute_b32 v4, v2, v1
	s_waitcnt lgkmcnt(0)
	v_cndmask_b32_e64 v4, 0, v4, s1
	s_delay_alu instid0(VALU_DEP_1)
	v_add_nc_u32_e32 v1, v1, v4
	v_cmpx_gt_i32_e64 s9, v11
	s_cbranch_execz .LBB29_32
; %bb.34:                               ;   in Loop: Header=BB29_33 Depth=1
	ds_store_b32 v3, v1
	s_branch .LBB29_32
.LBB29_35:
	s_set_inst_prefetch_distance 0x2
	v_add3_u32 v2, v10, s4, 0xffffffe1
	s_mov_b32 s1, exec_lo
	s_delay_alu instid0(VALU_DEP_1)
	v_cmpx_eq_u32_e64 s9, v2
	s_cbranch_execz .LBB29_37
; %bb.36:
	v_dual_mov_b32 v3, 0 :: v_dual_mov_b32 v2, s8
	global_store_b64 v3, v[1:2], s[22:23]
.LBB29_37:
	s_or_b32 exec_lo, exec_lo, s1
.LBB29_38:
	s_cmp_eq_u64 s[6:7], 0
	s_waitcnt lgkmcnt(0)
	s_waitcnt_vscnt null, 0x0
	s_barrier
	buffer_gl0_inv
	s_cbranch_scc1 .LBB29_43
; %bb.39:
	s_mul_i32 s3, s28, s8
	s_mov_b32 s4, exec_lo
	v_cmpx_gt_i32_e64 s3, v0
	s_cbranch_execz .LBB29_42
; %bb.40:
	v_add_co_u32 v1, s1, s12, v7
	s_delay_alu instid0(VALU_DEP_1) | instskip(SKIP_1) | instid1(VALU_DEP_1)
	v_add_co_ci_u32_e64 v2, null, s13, 0, s1
	v_add_co_u32 v3, s1, s6, v7
	v_add_co_ci_u32_e64 v4, null, s7, 0, s1
	v_mov_b32_e32 v11, v0
	s_mov_b32 s5, 0
	.p2align	6
.LBB29_41:                              ; =>This Inner Loop Header: Depth=1
	global_load_b32 v12, v[1:2], off
	v_add_nc_u32_e32 v11, 0x100, v11
	v_add_co_u32 v1, vcc_lo, 0x400, v1
	v_add_co_ci_u32_e32 v2, vcc_lo, 0, v2, vcc_lo
	s_delay_alu instid0(VALU_DEP_3) | instskip(SKIP_4) | instid1(VALU_DEP_1)
	v_cmp_le_i32_e32 vcc_lo, s3, v11
	s_or_b32 s5, vcc_lo, s5
	s_waitcnt vmcnt(0)
	global_store_b32 v[3:4], v12, off
	v_add_co_u32 v3, s1, 0x400, v3
	v_add_co_ci_u32_e64 v4, s1, 0, v4, s1
	s_and_not1_b32 exec_lo, exec_lo, s5
	s_cbranch_execnz .LBB29_41
.LBB29_42:
	s_or_b32 exec_lo, exec_lo, s4
	s_waitcnt_vscnt null, 0x0
	s_barrier
	buffer_gl0_inv
.LBB29_43:
	s_lshl_b32 s4, s9, 2
	v_cmp_gt_i32_e64 s1, s9, v0
	s_add_i32 s5, s4, 0
	s_mov_b32 s6, 0
	s_add_i32 s22, s5, 4
	s_delay_alu instid0(VALU_DEP_1)
	s_and_saveexec_b32 s7, s1
	s_cbranch_execz .LBB29_49
; %bb.44:
	v_dual_mov_b32 v2, 0 :: v_dual_mov_b32 v11, v0
	s_set_inst_prefetch_distance 0x1
	s_branch .LBB29_46
	.p2align	6
.LBB29_45:                              ;   in Loop: Header=BB29_46 Depth=1
	s_or_b32 exec_lo, exec_lo, s23
	v_add_nc_u32_e32 v11, 0x100, v11
	s_delay_alu instid0(VALU_DEP_1) | instskip(SKIP_1) | instid1(SALU_CYCLE_1)
	v_cmp_le_i32_e32 vcc_lo, s9, v11
	s_or_b32 s6, vcc_lo, s6
	s_and_not1_b32 exec_lo, exec_lo, s6
	s_cbranch_execz .LBB29_49
.LBB29_46:                              ; =>This Loop Header: Depth=1
                                        ;     Child Loop BB29_48 Depth 2
	s_delay_alu instid0(VALU_DEP_1) | instskip(SKIP_1) | instid1(VALU_DEP_1)
	v_lshlrev_b32_e32 v1, 2, v11
	s_mov_b32 s23, exec_lo
	v_add_nc_u32_e32 v3, 0, v1
	v_add_nc_u32_e32 v1, s22, v1
	ds_load_2addr_b32 v[3:4], v3 offset1:1
	s_waitcnt lgkmcnt(0)
	ds_store_b32 v1, v3
	v_cmpx_lt_i32_e64 v3, v4
	s_cbranch_execz .LBB29_45
; %bb.47:                               ;   in Loop: Header=BB29_46 Depth=1
	s_mov_b32 s24, 0
	.p2align	6
.LBB29_48:                              ;   Parent Loop BB29_46 Depth=1
                                        ; =>  This Inner Loop Header: Depth=2
	v_mul_hi_u32 v1, s26, v3
	s_delay_alu instid0(VALU_DEP_1) | instskip(SKIP_1) | instid1(VALU_DEP_2)
	v_add_nc_u32_e32 v1, v3, v1
	v_add_nc_u32_e32 v3, s25, v3
	v_lshrrev_b32_e32 v1, s27, v1
	s_delay_alu instid0(VALU_DEP_2) | instskip(NEXT) | instid1(VALU_DEP_2)
	v_cmp_ge_i32_e32 vcc_lo, v3, v4
	v_lshlrev_b64 v[12:13], 2, v[1:2]
	s_or_b32 s24, vcc_lo, s24
	s_delay_alu instid0(VALU_DEP_1) | instskip(NEXT) | instid1(VALU_DEP_1)
	v_add_co_u32 v12, s3, s20, v12
	v_add_co_ci_u32_e64 v13, s3, s21, v13, s3
	global_store_b32 v[12:13], v11, off
	s_and_not1_b32 exec_lo, exec_lo, s24
	s_cbranch_execnz .LBB29_48
	s_branch .LBB29_45
.LBB29_49:
	s_set_inst_prefetch_distance 0x2
	s_or_b32 exec_lo, exec_lo, s7
	s_add_i32 s3, s5, s4
	s_delay_alu instid0(SALU_CYCLE_1)
	v_dual_mov_b32 v1, s5 :: v_dual_mov_b32 v2, s3
	s_waitcnt lgkmcnt(0)
	s_waitcnt_vscnt null, 0x0
	s_barrier
	buffer_gl0_inv
	ds_load_b32 v1, v1
	s_and_not1_b32 vcc_lo, exec_lo, s40
	s_waitcnt lgkmcnt(0)
	ds_store_b32 v2, v1 offset:4
	s_cbranch_vccnz .LBB29_69
; %bb.50:
	s_sub_i32 s5, s37, s31
	s_add_u32 s23, s16, -4
	s_addc_u32 s24, s17, -1
	s_add_u32 s25, s14, -4
	s_addc_u32 s26, s15, -1
	v_dual_mov_b32 v14, 0 :: v_dual_and_b32 v1, 8, v10
	s_add_u32 s27, s18, -4
	s_addc_u32 s31, s19, -1
	s_lshl_b32 s35, s9, 3
	s_delay_alu instid0(VALU_DEP_1)
	v_cmp_eq_u32_e64 s4, 0, v1
	v_add3_u32 v5, v5, s35, v6
	v_mad_u64_u32 v[1:2], null, v0, s10, 0
	v_mad_u64_u32 v[3:4], null, v0, s29, 0
	v_mul_lo_u32 v12, s28, v8
	s_add_i32 s14, s35, 0
	s_mov_b32 s7, 0
	v_cmp_gt_i32_e32 vcc_lo, s39, v0
	v_cmp_gt_i32_e64 s3, s33, v8
	v_or_b32_e32 v10, 28, v7
	v_add3_u32 v11, s14, v7, 8
	v_add3_u32 v13, v5, 0, 8
	s_mov_b32 s6, s10
	s_mov_b32 s20, s29
	;; [unrolled: 1-line block ×3, first 2 shown]
	s_lshl_b32 s35, s9, 5
	s_lshl_b32 s34, s5, 2
	s_lshl_b64 s[14:15], s[6:7], 8
	s_sub_i32 s10, 0, s28
	s_lshl_b64 s[20:21], s[20:21], 8
	s_lshl_b32 s29, s28, 3
	s_add_i32 s35, s35, 32
	s_mov_b32 s40, s7
	s_branch .LBB29_52
.LBB29_51:                              ;   in Loop: Header=BB29_52 Depth=1
	s_or_b32 exec_lo, exec_lo, s41
	v_add_nc_u32_e32 v12, s39, v12
	s_add_i32 s40, s40, s33
	s_add_i32 s7, s7, s39
	s_cmp_ge_i32 s40, s8
	s_waitcnt lgkmcnt(0)
	s_waitcnt_vscnt null, 0x0
	s_barrier
	buffer_gl0_inv
	s_cbranch_scc1 .LBB29_69
.LBB29_52:                              ; =>This Loop Header: Depth=1
                                        ;     Child Loop BB29_54 Depth 2
                                        ;     Child Loop BB29_58 Depth 2
                                        ;     Child Loop BB29_64 Depth 2
                                        ;       Child Loop BB29_67 Depth 3
	s_and_saveexec_b32 s41, s2
	s_cbranch_execz .LBB29_55
; %bb.53:                               ;   in Loop: Header=BB29_52 Depth=1
	v_dual_mov_b32 v6, v2 :: v_dual_mov_b32 v5, v1
	v_mov_b32_e32 v7, v11
	v_mov_b32_e32 v15, v0
	s_mov_b32 s42, 0
	.p2align	6
.LBB29_54:                              ;   Parent Loop BB29_52 Depth=1
                                        ; =>  This Inner Loop Header: Depth=2
	s_delay_alu instid0(VALU_DEP_1) | instskip(SKIP_2) | instid1(VALU_DEP_1)
	v_add_nc_u32_e32 v16, v15, v6
	v_add_nc_u32_e32 v15, 0x100, v15
	v_add_co_u32 v5, s5, v5, s14
	v_add_co_ci_u32_e64 v6, s5, s15, v6, s5
	s_delay_alu instid0(VALU_DEP_4) | instskip(NEXT) | instid1(VALU_DEP_4)
	v_lshrrev_b32_e32 v18, s11, v16
	v_cmp_le_i32_e64 s6, s36, v15
	s_delay_alu instid0(VALU_DEP_2) | instskip(SKIP_1) | instid1(VALU_DEP_3)
	v_mad_u64_u32 v[16:17], null, s34, v18, v[7:8]
	v_add_nc_u32_e32 v7, 0x400, v7
	s_or_b32 s42, s6, s42
	ds_store_b32 v16, v14
	s_and_not1_b32 exec_lo, exec_lo, s42
	s_cbranch_execnz .LBB29_54
.LBB29_55:                              ;   in Loop: Header=BB29_52 Depth=1
	s_or_b32 exec_lo, exec_lo, s41
	s_waitcnt lgkmcnt(0)
	s_barrier
	buffer_gl0_inv
	s_and_saveexec_b32 s41, vcc_lo
	s_cbranch_execz .LBB29_60
; %bb.56:                               ;   in Loop: Header=BB29_52 Depth=1
	v_dual_mov_b32 v6, v4 :: v_dual_mov_b32 v5, v3
	v_mov_b32_e32 v7, v0
	s_mov_b32 s42, 0
	s_set_inst_prefetch_distance 0x1
	s_branch .LBB29_58
	.p2align	6
.LBB29_57:                              ;   in Loop: Header=BB29_58 Depth=2
	s_or_b32 exec_lo, exec_lo, s6
	v_add_nc_u32_e32 v7, 0x100, v7
	v_add_co_u32 v5, s6, v5, s20
	s_delay_alu instid0(VALU_DEP_1) | instskip(NEXT) | instid1(VALU_DEP_3)
	v_add_co_ci_u32_e64 v6, s6, s21, v6, s6
	v_cmp_le_i32_e64 s5, s39, v7
	s_delay_alu instid0(VALU_DEP_1) | instskip(NEXT) | instid1(SALU_CYCLE_1)
	s_or_b32 s42, s5, s42
	s_and_not1_b32 exec_lo, exec_lo, s42
	s_cbranch_execz .LBB29_60
.LBB29_58:                              ;   Parent Loop BB29_52 Depth=1
                                        ; =>  This Inner Loop Header: Depth=2
	s_delay_alu instid0(VALU_DEP_1) | instskip(SKIP_1) | instid1(VALU_DEP_1)
	v_add_nc_u32_e32 v15, v7, v6
	s_mov_b32 s6, exec_lo
	v_lshrrev_b32_e32 v15, s30, v15
	s_delay_alu instid0(VALU_DEP_1) | instskip(NEXT) | instid1(VALU_DEP_1)
	v_add_nc_u32_e32 v16, s40, v15
	v_cmpx_gt_i32_e64 s8, v16
	s_cbranch_execz .LBB29_57
; %bb.59:                               ;   in Loop: Header=BB29_58 Depth=2
	v_add_nc_u32_e32 v16, s7, v7
	s_delay_alu instid0(VALU_DEP_1) | instskip(NEXT) | instid1(VALU_DEP_1)
	v_ashrrev_i32_e32 v17, 31, v16
	v_lshlrev_b64 v[16:17], 2, v[16:17]
	s_delay_alu instid0(VALU_DEP_1) | instskip(NEXT) | instid1(VALU_DEP_1)
	v_add_co_u32 v16, s5, s12, v16
	v_add_co_ci_u32_e64 v17, s5, s13, v17, s5
	global_load_b32 v16, v[16:17], off
	v_mul_lo_u32 v17, v15, s37
	v_mul_lo_u32 v15, s10, v15
	s_delay_alu instid0(VALU_DEP_2) | instskip(NEXT) | instid1(VALU_DEP_2)
	v_lshlrev_b32_e32 v17, 2, v17
	v_add3_u32 v15, v7, v15, 1
	s_waitcnt vmcnt(0)
	v_lshlrev_b32_e32 v16, 2, v16
	s_delay_alu instid0(VALU_DEP_1)
	v_add3_u32 v16, s38, v16, v17
	ds_store_b32 v16, v15
	s_branch .LBB29_57
.LBB29_60:                              ;   in Loop: Header=BB29_52 Depth=1
	s_set_inst_prefetch_distance 0x2
	s_or_b32 exec_lo, exec_lo, s41
	s_waitcnt lgkmcnt(0)
	s_barrier
	buffer_gl0_inv
	s_and_saveexec_b32 s41, s0
	s_cbranch_execz .LBB29_51
; %bb.61:                               ;   in Loop: Header=BB29_52 Depth=1
	v_mov_b32_e32 v5, v13
	v_mov_b32_e32 v6, v9
	s_mov_b32 s42, 0
	s_branch .LBB29_64
.LBB29_62:                              ;   in Loop: Header=BB29_64 Depth=2
	s_or_b32 exec_lo, exec_lo, s44
.LBB29_63:                              ;   in Loop: Header=BB29_64 Depth=2
	s_delay_alu instid0(SALU_CYCLE_1)
	s_or_b32 exec_lo, exec_lo, s43
	v_add_nc_u32_e32 v6, 32, v6
	v_add_nc_u32_e32 v5, 0x80, v5
	s_waitcnt lgkmcnt(0)
	ds_store_b32 v7, v15
	v_cmp_le_i32_e64 s5, s9, v6
	s_delay_alu instid0(VALU_DEP_1) | instskip(NEXT) | instid1(SALU_CYCLE_1)
	s_or_b32 s42, s5, s42
	s_and_not1_b32 exec_lo, exec_lo, s42
	s_cbranch_execz .LBB29_51
.LBB29_64:                              ;   Parent Loop BB29_52 Depth=1
                                        ; =>  This Loop Header: Depth=2
                                        ;       Child Loop BB29_67 Depth 3
	s_delay_alu instid0(VALU_DEP_1)
	v_lshl_add_u32 v7, v6, 2, 0
	ds_load_b32 v15, v7
	s_and_saveexec_b32 s43, s3
	s_cbranch_execz .LBB29_63
; %bb.65:                               ;   in Loop: Header=BB29_64 Depth=2
	v_dual_mov_b32 v16, v5 :: v_dual_mov_b32 v17, v12
	v_mov_b32_e32 v18, v8
	s_mov_b32 s44, 0
	s_branch .LBB29_67
.LBB29_66:                              ;   in Loop: Header=BB29_67 Depth=3
	s_or_b32 exec_lo, exec_lo, s6
	ds_bpermute_b32 v19, v10, v19
	v_add_nc_u32_e32 v18, 8, v18
	v_add_nc_u32_e32 v17, s29, v17
	;; [unrolled: 1-line block ×3, first 2 shown]
	s_delay_alu instid0(VALU_DEP_3) | instskip(NEXT) | instid1(VALU_DEP_1)
	v_cmp_le_i32_e64 s5, s33, v18
	s_or_b32 s44, s5, s44
	s_waitcnt lgkmcnt(0)
	v_add_nc_u32_e32 v15, v19, v15
	s_and_not1_b32 exec_lo, exec_lo, s44
	s_cbranch_execz .LBB29_62
.LBB29_67:                              ;   Parent Loop BB29_52 Depth=1
                                        ;     Parent Loop BB29_64 Depth=2
                                        ; =>    This Inner Loop Header: Depth=3
	ds_load_b32 v20, v16
	s_waitcnt lgkmcnt(0)
	v_cmp_ne_u32_e64 s5, 0, v20
	s_delay_alu instid0(VALU_DEP_1) | instskip(NEXT) | instid1(VALU_DEP_1)
	v_cndmask_b32_e64 v19, 0, 1, s5
	v_mov_b32_dpp v19, v19 row_shr:1 row_mask:0xf bank_mask:0xf bound_ctrl:1
	s_delay_alu instid0(VALU_DEP_1) | instskip(NEXT) | instid1(VALU_DEP_1)
	v_add_co_ci_u32_e64 v21, s6, 0, v19, s5
	v_mov_b32_dpp v21, v21 row_shr:2 row_mask:0xf bank_mask:0xf bound_ctrl:1
	s_delay_alu instid0(VALU_DEP_1) | instskip(NEXT) | instid1(VALU_DEP_1)
	v_add_co_ci_u32_e64 v19, s6, v21, v19, s5
	v_add_nc_u32_dpp v19, v19, v19 row_shr:4 row_mask:0xf bank_mask:0xf bound_ctrl:1
	s_delay_alu instid0(VALU_DEP_1) | instskip(NEXT) | instid1(VALU_DEP_1)
	v_add_nc_u32_dpp v19, v19, v19 row_shr:8 row_mask:0xf bank_mask:0xf bound_ctrl:1
	v_mov_b32_dpp v21, v19 row_share:7 row_mask:0xf bank_mask:0xf bound_ctrl:1
	s_delay_alu instid0(VALU_DEP_1) | instskip(NEXT) | instid1(VALU_DEP_1)
	v_cndmask_b32_e64 v21, v21, 0, s4
	v_sub_nc_u32_e32 v19, v19, v21
	s_and_saveexec_b32 s6, s5
	s_cbranch_execz .LBB29_66
; %bb.68:                               ;   in Loop: Header=BB29_67 Depth=3
	v_add_nc_u32_e32 v21, v17, v20
	v_add_nc_u32_e32 v23, s40, v18
	s_delay_alu instid0(VALU_DEP_2) | instskip(NEXT) | instid1(VALU_DEP_2)
	v_ashrrev_i32_e32 v22, 31, v21
	v_perm_b32 v23, v20, v23, 0x4020100
	s_delay_alu instid0(VALU_DEP_2) | instskip(NEXT) | instid1(VALU_DEP_2)
	v_lshlrev_b64 v[21:22], 2, v[21:22]
	v_add_nc_u32_e32 v25, 0xff000000, v23
	s_delay_alu instid0(VALU_DEP_2) | instskip(NEXT) | instid1(VALU_DEP_1)
	v_add_co_u32 v21, s5, s25, v21
	v_add_co_ci_u32_e64 v22, s5, s26, v22, s5
	global_load_b32 v24, v[21:22], off
	v_add_nc_u32_e32 v21, v19, v15
	s_delay_alu instid0(VALU_DEP_1) | instskip(NEXT) | instid1(VALU_DEP_1)
	v_ashrrev_i32_e32 v22, 31, v21
	v_lshlrev_b64 v[20:21], 2, v[21:22]
	s_delay_alu instid0(VALU_DEP_1) | instskip(NEXT) | instid1(VALU_DEP_1)
	v_add_co_u32 v22, s5, s23, v20
	v_add_co_ci_u32_e64 v23, s5, s24, v21, s5
	v_add_co_u32 v20, s5, s27, v20
	s_delay_alu instid0(VALU_DEP_1)
	v_add_co_ci_u32_e64 v21, s5, s31, v21, s5
	global_store_b32 v[22:23], v25, off
	s_waitcnt vmcnt(0)
	global_store_b32 v[20:21], v24, off
	s_branch .LBB29_66
.LBB29_69:
	s_and_saveexec_b32 s0, s1
	s_cbranch_execz .LBB29_75
; %bb.70:
	v_mov_b32_e32 v6, 0
	s_and_b32 s0, s8, 0xffffff
	s_lshl_b32 s1, s28, 24
	s_add_i32 s22, s22, 4
	s_or_b32 s1, s1, s0
	s_mov_b32 s2, 0
	s_set_inst_prefetch_distance 0x1
	s_branch .LBB29_72
	.p2align	6
.LBB29_71:                              ;   in Loop: Header=BB29_72 Depth=1
	s_or_b32 exec_lo, exec_lo, s3
	v_add_nc_u32_e32 v0, 0x100, v0
	s_delay_alu instid0(VALU_DEP_1) | instskip(SKIP_1) | instid1(SALU_CYCLE_1)
	v_cmp_le_i32_e32 vcc_lo, s9, v0
	s_or_b32 s2, vcc_lo, s2
	s_and_not1_b32 exec_lo, exec_lo, s2
	s_cbranch_execz .LBB29_75
.LBB29_72:                              ; =>This Loop Header: Depth=1
                                        ;     Child Loop BB29_74 Depth 2
	v_lshlrev_b32_e32 v1, 2, v0
	s_mov_b32 s3, exec_lo
	s_delay_alu instid0(VALU_DEP_1)
	v_add_nc_u32_e32 v2, 0, v1
	v_add_nc_u32_e32 v3, s22, v1
	ds_load_b32 v1, v2
	ds_load_b32 v7, v3
	s_waitcnt lgkmcnt(0)
	v_cmpx_lt_i32_e64 v1, v7
	s_cbranch_execz .LBB29_71
; %bb.73:                               ;   in Loop: Header=BB29_72 Depth=1
	v_ashrrev_i32_e32 v2, 31, v1
	s_mov_b32 s4, 0
	s_delay_alu instid0(VALU_DEP_1) | instskip(NEXT) | instid1(VALU_DEP_1)
	v_lshlrev_b64 v[4:5], 2, v[1:2]
	v_add_co_u32 v2, vcc_lo, s16, v4
	s_delay_alu instid0(VALU_DEP_2)
	v_add_co_ci_u32_e32 v3, vcc_lo, s17, v5, vcc_lo
	v_add_co_u32 v4, vcc_lo, s18, v4
	v_add_co_ci_u32_e32 v5, vcc_lo, s19, v5, vcc_lo
	.p2align	6
.LBB29_74:                              ;   Parent Loop BB29_72 Depth=1
                                        ; =>  This Inner Loop Header: Depth=2
	v_dual_mov_b32 v8, s1 :: v_dual_add_nc_u32 v1, 1, v1
	global_store_b32 v[4:5], v6, off
	v_add_co_u32 v4, vcc_lo, v4, 4
	v_add_co_ci_u32_e32 v5, vcc_lo, 0, v5, vcc_lo
	global_store_b32 v[2:3], v8, off
	v_cmp_ge_i32_e32 vcc_lo, v1, v7
	v_add_co_u32 v2, s0, v2, 4
	s_delay_alu instid0(VALU_DEP_1) | instskip(SKIP_1) | instid1(SALU_CYCLE_1)
	v_add_co_ci_u32_e64 v3, s0, 0, v3, s0
	s_or_b32 s4, vcc_lo, s4
	s_and_not1_b32 exec_lo, exec_lo, s4
	s_cbranch_execnz .LBB29_74
	s_branch .LBB29_71
.LBB29_75:
	s_set_inst_prefetch_distance 0x2
	s_nop 0
	s_sendmsg sendmsg(MSG_DEALLOC_VGPRS)
	s_endpgm
	.section	.rodata,"a",@progbits
	.p2align	6, 0x0
	.amdhsa_kernel _ZN5aiter22opus_moe_sorting_entryINS_16MoeSortingKernelINS_19MoeSortingProblemExIifLi8ELb0ELb0ELb0ELb1ELi0EEEEENS4_5KargsEEEvT0_
		.amdhsa_group_segment_fixed_size 0
		.amdhsa_private_segment_fixed_size 0
		.amdhsa_kernarg_size 400
		.amdhsa_user_sgpr_count 15
		.amdhsa_user_sgpr_dispatch_ptr 0
		.amdhsa_user_sgpr_queue_ptr 0
		.amdhsa_user_sgpr_kernarg_segment_ptr 1
		.amdhsa_user_sgpr_dispatch_id 0
		.amdhsa_user_sgpr_private_segment_size 0
		.amdhsa_wavefront_size32 1
		.amdhsa_uses_dynamic_stack 0
		.amdhsa_enable_private_segment 0
		.amdhsa_system_sgpr_workgroup_id_x 1
		.amdhsa_system_sgpr_workgroup_id_y 0
		.amdhsa_system_sgpr_workgroup_id_z 0
		.amdhsa_system_sgpr_workgroup_info 0
		.amdhsa_system_vgpr_workitem_id 0
		.amdhsa_next_free_vgpr 30
		.amdhsa_next_free_sgpr 45
		.amdhsa_reserve_vcc 1
		.amdhsa_float_round_mode_32 0
		.amdhsa_float_round_mode_16_64 0
		.amdhsa_float_denorm_mode_32 3
		.amdhsa_float_denorm_mode_16_64 3
		.amdhsa_dx10_clamp 1
		.amdhsa_ieee_mode 1
		.amdhsa_fp16_overflow 0
		.amdhsa_workgroup_processor_mode 1
		.amdhsa_memory_ordered 1
		.amdhsa_forward_progress 0
		.amdhsa_shared_vgpr_count 0
		.amdhsa_exception_fp_ieee_invalid_op 0
		.amdhsa_exception_fp_denorm_src 0
		.amdhsa_exception_fp_ieee_div_zero 0
		.amdhsa_exception_fp_ieee_overflow 0
		.amdhsa_exception_fp_ieee_underflow 0
		.amdhsa_exception_fp_ieee_inexact 0
		.amdhsa_exception_int_div_zero 0
	.end_amdhsa_kernel
	.section	.text._ZN5aiter22opus_moe_sorting_entryINS_16MoeSortingKernelINS_19MoeSortingProblemExIifLi8ELb0ELb0ELb0ELb1ELi0EEEEENS4_5KargsEEEvT0_,"axG",@progbits,_ZN5aiter22opus_moe_sorting_entryINS_16MoeSortingKernelINS_19MoeSortingProblemExIifLi8ELb0ELb0ELb0ELb1ELi0EEEEENS4_5KargsEEEvT0_,comdat
.Lfunc_end29:
	.size	_ZN5aiter22opus_moe_sorting_entryINS_16MoeSortingKernelINS_19MoeSortingProblemExIifLi8ELb0ELb0ELb0ELb1ELi0EEEEENS4_5KargsEEEvT0_, .Lfunc_end29-_ZN5aiter22opus_moe_sorting_entryINS_16MoeSortingKernelINS_19MoeSortingProblemExIifLi8ELb0ELb0ELb0ELb1ELi0EEEEENS4_5KargsEEEvT0_
                                        ; -- End function
	.section	.AMDGPU.csdata,"",@progbits
; Kernel info:
; codeLenInByte = 3868
; NumSgprs: 47
; NumVgprs: 30
; ScratchSize: 0
; MemoryBound: 0
; FloatMode: 240
; IeeeMode: 1
; LDSByteSize: 0 bytes/workgroup (compile time only)
; SGPRBlocks: 5
; VGPRBlocks: 3
; NumSGPRsForWavesPerEU: 47
; NumVGPRsForWavesPerEU: 30
; Occupancy: 16
; WaveLimiterHint : 1
; COMPUTE_PGM_RSRC2:SCRATCH_EN: 0
; COMPUTE_PGM_RSRC2:USER_SGPR: 15
; COMPUTE_PGM_RSRC2:TRAP_HANDLER: 0
; COMPUTE_PGM_RSRC2:TGID_X_EN: 1
; COMPUTE_PGM_RSRC2:TGID_Y_EN: 0
; COMPUTE_PGM_RSRC2:TGID_Z_EN: 0
; COMPUTE_PGM_RSRC2:TIDIG_COMP_CNT: 0
	.section	.text._ZN5aiter22opus_moe_sorting_entryINS_16MoeSortingKernelINS_19MoeSortingProblemExIifLi4ELb0ELb0ELb0ELb1ELi0EEEEENS4_5KargsEEEvT0_,"axG",@progbits,_ZN5aiter22opus_moe_sorting_entryINS_16MoeSortingKernelINS_19MoeSortingProblemExIifLi4ELb0ELb0ELb0ELb1ELi0EEEEENS4_5KargsEEEvT0_,comdat
	.protected	_ZN5aiter22opus_moe_sorting_entryINS_16MoeSortingKernelINS_19MoeSortingProblemExIifLi4ELb0ELb0ELb0ELb1ELi0EEEEENS4_5KargsEEEvT0_ ; -- Begin function _ZN5aiter22opus_moe_sorting_entryINS_16MoeSortingKernelINS_19MoeSortingProblemExIifLi4ELb0ELb0ELb0ELb1ELi0EEEEENS4_5KargsEEEvT0_
	.globl	_ZN5aiter22opus_moe_sorting_entryINS_16MoeSortingKernelINS_19MoeSortingProblemExIifLi4ELb0ELb0ELb0ELb1ELi0EEEEENS4_5KargsEEEvT0_
	.p2align	8
	.type	_ZN5aiter22opus_moe_sorting_entryINS_16MoeSortingKernelINS_19MoeSortingProblemExIifLi4ELb0ELb0ELb0ELb1ELi0EEEEENS4_5KargsEEEvT0_,@function
_ZN5aiter22opus_moe_sorting_entryINS_16MoeSortingKernelINS_19MoeSortingProblemExIifLi4ELb0ELb0ELb0ELb1ELi0EEEEENS4_5KargsEEEvT0_: ; @_ZN5aiter22opus_moe_sorting_entryINS_16MoeSortingKernelINS_19MoeSortingProblemExIifLi4ELb0ELb0ELb0ELb1ELi0EEEEENS4_5KargsEEEvT0_
; %bb.0:
	s_clause 0x1
	s_load_b256 s[16:23], s[0:1], 0x20
	s_load_b256 s[4:11], s[0:1], 0x40
	s_cmp_eq_u32 s15, 0
	s_cbranch_scc1 .LBB30_7
; %bb.1:
	s_waitcnt lgkmcnt(0)
	s_cmp_eq_u64 s[4:5], 0
	s_cbranch_scc1 .LBB30_6
; %bb.2:
	s_mul_i32 s2, s10, s8
	s_ashr_i32 s3, s11, 31
	s_mul_hi_u32 s12, s2, s11
	s_mul_i32 s3, s2, s3
	s_mul_hi_i32 s10, s10, s8
	s_add_i32 s3, s12, s3
	s_mul_i32 s10, s10, s11
	s_mul_i32 s2, s2, s11
	s_add_i32 s3, s3, s10
	v_mov_b32_e32 v2, 0
	s_ashr_i32 s10, s3, 31
	s_mov_b32 s13, 0
	s_lshr_b32 s10, s10, 28
	s_delay_alu instid0(SALU_CYCLE_1) | instskip(SKIP_2) | instid1(SALU_CYCLE_1)
	s_add_u32 s2, s2, s10
	s_addc_u32 s3, s3, 0
	s_lshl_b32 s10, s15, 8
	v_add3_u32 v1, v0, s10, 0xffffff00
	s_ashr_i64 s[10:11], s[2:3], 4
	s_mov_b32 s3, exec_lo
	s_delay_alu instid0(VALU_DEP_1)
	v_cmpx_gt_i64_e64 s[10:11], v[1:2]
	s_cbranch_execz .LBB30_5
; %bb.3:
	s_load_b32 s2, s[0:1], 0x90
	v_lshlrev_b64 v[3:4], 4, v[1:2]
	v_dual_mov_b32 v6, v2 :: v_dual_mov_b32 v5, v1
	v_mov_b32_e32 v1, v2
	s_delay_alu instid0(VALU_DEP_3) | instskip(NEXT) | instid1(VALU_DEP_4)
	v_add_co_u32 v7, vcc_lo, s4, v3
	v_add_co_ci_u32_e32 v8, vcc_lo, s5, v4, vcc_lo
	v_mov_b32_e32 v3, v2
	v_mov_b32_e32 v4, v2
	s_waitcnt lgkmcnt(0)
	s_lshl_b32 s2, s2, 8
	s_delay_alu instid0(SALU_CYCLE_1) | instskip(NEXT) | instid1(SALU_CYCLE_1)
	s_add_i32 s12, s2, 0xffffff00
	s_lshl_b64 s[4:5], s[12:13], 4
.LBB30_4:                               ; =>This Inner Loop Header: Depth=1
	v_add_co_u32 v5, vcc_lo, v5, s12
	v_add_co_ci_u32_e32 v6, vcc_lo, 0, v6, vcc_lo
	global_store_b128 v[7:8], v[1:4], off
	v_add_co_u32 v7, s2, v7, s4
	v_cmp_le_i64_e32 vcc_lo, s[10:11], v[5:6]
	v_add_co_ci_u32_e64 v8, s2, s5, v8, s2
	s_or_b32 s13, vcc_lo, s13
	s_delay_alu instid0(SALU_CYCLE_1)
	s_and_not1_b32 exec_lo, exec_lo, s13
	s_cbranch_execnz .LBB30_4
.LBB30_5:
	s_or_b32 exec_lo, exec_lo, s3
.LBB30_6:
	s_cbranch_execz .LBB30_8
	s_branch .LBB30_75
.LBB30_7:
.LBB30_8:
	s_load_b256 s[24:31], s[0:1], 0x64
	s_waitcnt lgkmcnt(0)
	s_load_b64 s[10:11], s[0:1], 0x84
	v_lshrrev_b32_e32 v1, 5, v0
	v_lshlrev_b32_e32 v7, 2, v0
	s_add_i32 s37, s9, 1
	s_delay_alu instid0(VALU_DEP_2) | instskip(SKIP_1) | instid1(SALU_CYCLE_1)
	v_readfirstlane_b32 s41, v1
	s_add_i32 s33, s24, -2
	s_mul_i32 s36, s33, s9
	s_delay_alu instid0(SALU_CYCLE_1) | instskip(NEXT) | instid1(VALU_DEP_1)
	v_cmp_gt_i32_e64 s2, s36, v0
	s_and_saveexec_b32 s14, s2
	s_cbranch_execz .LBB30_11
; %bb.9:
	s_lshl_b32 s3, s9, 3
	s_waitcnt lgkmcnt(0)
	v_mad_u64_u32 v[1:2], null, v0, s10, 0
	s_add_i32 s3, s3, 0
	v_dual_mov_b32 v4, 0 :: v_dual_mov_b32 v5, v0
	v_add3_u32 v3, s3, v7, 8
	s_mov_b32 s5, 0
	s_sub_i32 s12, s37, s31
	s_mov_b32 s4, s10
	s_lshl_b32 s15, s12, 2
	s_lshl_b64 s[12:13], s[4:5], 8
	.p2align	6
.LBB30_10:                              ; =>This Inner Loop Header: Depth=1
	v_add_nc_u32_e32 v6, v5, v2
	v_add_nc_u32_e32 v5, 0x100, v5
	v_add_co_u32 v1, vcc_lo, v1, s12
	v_add_co_ci_u32_e32 v2, vcc_lo, s13, v2, vcc_lo
	s_delay_alu instid0(VALU_DEP_4) | instskip(NEXT) | instid1(VALU_DEP_4)
	v_lshrrev_b32_e32 v6, s11, v6
	v_cmp_le_i32_e64 s3, s36, v5
	s_delay_alu instid0(VALU_DEP_2) | instskip(SKIP_1) | instid1(VALU_DEP_3)
	v_mad_u64_u32 v[8:9], null, s15, v6, v[3:4]
	v_add_nc_u32_e32 v3, 0x400, v3
	s_or_b32 s5, s3, s5
	ds_store_b32 v8, v4
	s_and_not1_b32 exec_lo, exec_lo, s5
	s_cbranch_execnz .LBB30_10
.LBB30_11:
	s_or_b32 exec_lo, exec_lo, s14
	s_load_b128 s[12:15], s[0:1], 0x0
	s_lshl_b32 s0, s37, 3
	s_mul_i32 s39, s28, s33
	s_add_i32 s38, s0, 0
	v_cmp_gt_i32_e32 vcc_lo, s39, v0
	s_cmp_gt_i32 s8, 0
	s_mov_b32 s5, 0
	s_cselect_b32 s40, -1, 0
	s_cmp_lt_i32 s8, 1
	s_waitcnt lgkmcnt(0)
	s_waitcnt_vscnt null, 0x0
	s_barrier
	buffer_gl0_inv
	s_cbranch_scc1 .LBB30_19
; %bb.12:
	v_mad_u64_u32 v[1:2], null, v0, s29, 0
	v_mov_b32_e32 v4, 0
	s_mov_b32 s4, s29
	s_mov_b32 s3, 0
	s_lshl_b64 s[34:35], s[4:5], 8
	s_branch .LBB30_14
.LBB30_13:                              ;   in Loop: Header=BB30_14 Depth=1
	s_set_inst_prefetch_distance 0x2
	s_or_b32 exec_lo, exec_lo, s4
	s_add_i32 s3, s3, s33
	s_add_i32 s5, s5, s39
	s_cmp_ge_i32 s3, s8
	s_waitcnt lgkmcnt(0)
	s_barrier
	buffer_gl0_inv
	s_cbranch_scc1 .LBB30_19
.LBB30_14:                              ; =>This Loop Header: Depth=1
                                        ;     Child Loop BB30_17 Depth 2
	s_and_saveexec_b32 s4, vcc_lo
	s_cbranch_execz .LBB30_13
; %bb.15:                               ;   in Loop: Header=BB30_14 Depth=1
	v_dual_mov_b32 v6, v2 :: v_dual_mov_b32 v5, v1
	v_mov_b32_e32 v8, v0
	s_mov_b32 s42, 0
	s_set_inst_prefetch_distance 0x1
	s_branch .LBB30_17
	.p2align	6
.LBB30_16:                              ;   in Loop: Header=BB30_17 Depth=2
	s_or_b32 exec_lo, exec_lo, s1
	v_add_nc_u32_e32 v8, 0x100, v8
	v_add_co_u32 v5, s1, v5, s34
	s_delay_alu instid0(VALU_DEP_1) | instskip(NEXT) | instid1(VALU_DEP_3)
	v_add_co_ci_u32_e64 v6, s1, s35, v6, s1
	v_cmp_le_i32_e64 s0, s39, v8
	s_waitcnt vmcnt(48) lgkmcnt(7)
	s_delay_alu instid0(VALU_DEP_1) | instskip(NEXT) | instid1(SALU_CYCLE_1)
	s_or_b32 s42, s0, s42
	s_and_not1_b32 exec_lo, exec_lo, s42
	s_cbranch_execz .LBB30_13
.LBB30_17:                              ;   Parent Loop BB30_14 Depth=1
                                        ; =>  This Inner Loop Header: Depth=2
	s_delay_alu instid0(VALU_DEP_1) | instskip(SKIP_1) | instid1(VALU_DEP_1)
	v_add_nc_u32_e32 v3, v8, v6
	s_mov_b32 s1, exec_lo
	v_lshrrev_b32_e32 v9, s30, v3
	s_delay_alu instid0(VALU_DEP_1) | instskip(NEXT) | instid1(VALU_DEP_1)
	v_add_nc_u32_e32 v3, s3, v9
	v_cmpx_gt_i32_e64 s8, v3
	s_cbranch_execz .LBB30_16
; %bb.18:                               ;   in Loop: Header=BB30_17 Depth=2
	v_add_nc_u32_e32 v3, s5, v8
	v_mul_lo_u32 v9, v9, s37
	s_delay_alu instid0(VALU_DEP_2) | instskip(NEXT) | instid1(VALU_DEP_2)
	v_lshlrev_b64 v[10:11], 2, v[3:4]
	v_lshlrev_b32_e32 v9, 2, v9
	s_delay_alu instid0(VALU_DEP_2) | instskip(NEXT) | instid1(VALU_DEP_1)
	v_add_co_u32 v10, s0, s12, v10
	v_add_co_ci_u32_e64 v11, s0, s13, v11, s0
	global_load_b32 v3, v[10:11], off
	s_waitcnt vmcnt(0)
	v_lshlrev_b32_e32 v3, 2, v3
	s_delay_alu instid0(VALU_DEP_1)
	v_add3_u32 v3, s38, v3, v9
	ds_load_b32 v9, v3
	s_waitcnt lgkmcnt(0)
	v_add_nc_u32_e32 v9, 1, v9
	ds_store_b32 v3, v9
	s_branch .LBB30_16
.LBB30_19:
	s_mov_b32 s0, exec_lo
	v_cmpx_eq_u32_e32 0, v0
	s_cbranch_execz .LBB30_21
; %bb.20:
	v_mov_b32_e32 v1, 0
	ds_store_b32 v1, v1
.LBB30_21:
	s_or_b32 exec_lo, exec_lo, s0
	v_and_b32_e32 v8, 7, v0
	v_lshrrev_b32_e32 v9, 3, v0
	v_mbcnt_lo_u32_b32 v10, -1, 0
	s_mov_b32 s4, 0
	s_delay_alu instid0(VALU_DEP_3) | instskip(NEXT) | instid1(VALU_DEP_3)
	v_mul_lo_u32 v1, s37, v8
	v_cmp_gt_i32_e64 s0, s9, v9
	v_lshlrev_b32_e32 v5, 2, v9
	s_delay_alu instid0(VALU_DEP_3) | instskip(NEXT) | instid1(VALU_DEP_3)
	v_lshlrev_b32_e32 v6, 2, v1
	s_and_saveexec_b32 s3, s0
	s_cbranch_execz .LBB30_29
; %bb.22:
	s_cmp_gt_i32 s24, 2
	s_mul_i32 s24, s9, 0x68
	s_mul_i32 s34, s9, 0x48
	s_cselect_b32 s5, -1, 0
	s_add_i32 s24, s24, 0
	s_add_i32 s34, s34, 0
	v_dual_mov_b32 v14, v9 :: v_dual_lshlrev_b32 v3, 2, v10
	v_add3_u32 v4, s24, v6, 0x68
	v_add3_u32 v11, s34, v6, 0x48
	s_mul_i32 s24, s9, 40
	s_lshl_b32 s34, s9, 3
	s_add_i32 s24, s24, 0
	s_add_i32 s34, s34, 0
	v_cmp_eq_u32_e64 s1, 0, v8
	v_xor_b32_e32 v1, 4, v3
	v_xor_b32_e32 v2, 8, v3
	;; [unrolled: 1-line block ×3, first 2 shown]
	v_add3_u32 v12, s24, v6, 40
	v_add3_u32 v13, s34, v6, 8
	s_lshl_b32 s24, s9, 7
	s_delay_alu instid0(SALU_CYCLE_1)
	s_addk_i32 s24, 0x80
	s_branch .LBB30_24
.LBB30_23:                              ;   in Loop: Header=BB30_24 Depth=1
	s_or_b32 exec_lo, exec_lo, s34
	v_add_nc_u32_e32 v14, 32, v14
	v_add_nc_u32_e32 v4, 0x80, v4
	;; [unrolled: 1-line block ×5, first 2 shown]
	v_cmp_le_i32_e32 vcc_lo, s9, v14
	s_or_b32 s4, vcc_lo, s4
	s_delay_alu instid0(SALU_CYCLE_1)
	s_and_not1_b32 exec_lo, exec_lo, s4
	s_cbranch_execz .LBB30_29
.LBB30_24:                              ; =>This Loop Header: Depth=1
                                        ;     Child Loop BB30_26 Depth 2
	v_mov_b32_e32 v15, 0
	s_and_not1_b32 vcc_lo, exec_lo, s5
	s_cbranch_vccnz .LBB30_27
; %bb.25:                               ;   in Loop: Header=BB30_24 Depth=1
	v_dual_mov_b32 v15, 0 :: v_dual_mov_b32 v16, v13
	v_dual_mov_b32 v17, v12 :: v_dual_mov_b32 v18, v11
	v_mov_b32_e32 v19, v4
	s_mov_b32 s34, 0
.LBB30_26:                              ;   Parent Loop BB30_24 Depth=1
                                        ; =>  This Inner Loop Header: Depth=2
	s_delay_alu instid0(VALU_DEP_3) | instskip(NEXT) | instid1(VALU_DEP_3)
	v_add_nc_u32_e32 v20, v16, v5
	v_add_nc_u32_e32 v21, v17, v5
	;; [unrolled: 1-line block ×5, first 2 shown]
	ds_load_b32 v20, v20
	ds_load_b32 v21, v21
	;; [unrolled: 1-line block ×4, first 2 shown]
	v_add_nc_u32_e32 v18, s24, v18
	v_add_nc_u32_e32 v17, s24, v17
	v_add_nc_u32_e32 v16, s24, v16
	s_add_i32 s34, s34, 32
	s_delay_alu instid0(SALU_CYCLE_1)
	s_cmp_lt_i32 s34, s33
	s_waitcnt lgkmcnt(3)
	ds_bpermute_b32 v24, v1, v20
	s_waitcnt lgkmcnt(3)
	ds_bpermute_b32 v25, v1, v21
	s_waitcnt lgkmcnt(3)
	ds_bpermute_b32 v26, v1, v22
	s_waitcnt lgkmcnt(3)
	ds_bpermute_b32 v27, v1, v23
	s_waitcnt lgkmcnt(3)
	v_add_nc_u32_e32 v20, v24, v20
	s_waitcnt lgkmcnt(2)
	v_add_nc_u32_e32 v21, v25, v21
	;; [unrolled: 2-line block ×4, first 2 shown]
	ds_bpermute_b32 v24, v2, v20
	ds_bpermute_b32 v25, v2, v21
	;; [unrolled: 1-line block ×4, first 2 shown]
	s_waitcnt lgkmcnt(3)
	v_add_nc_u32_e32 v20, v24, v20
	s_waitcnt lgkmcnt(2)
	v_add_nc_u32_e32 v21, v25, v21
	;; [unrolled: 2-line block ×4, first 2 shown]
	ds_bpermute_b32 v24, v3, v20
	ds_bpermute_b32 v25, v3, v21
	;; [unrolled: 1-line block ×4, first 2 shown]
	s_waitcnt lgkmcnt(3)
	v_add3_u32 v15, v20, v15, v24
	s_waitcnt lgkmcnt(2)
	s_delay_alu instid0(VALU_DEP_1) | instskip(SKIP_1) | instid1(VALU_DEP_1)
	v_add3_u32 v15, v15, v21, v25
	s_waitcnt lgkmcnt(1)
	v_add3_u32 v15, v15, v22, v26
	s_waitcnt lgkmcnt(0)
	s_delay_alu instid0(VALU_DEP_1)
	v_add3_u32 v15, v15, v23, v27
	s_cbranch_scc1 .LBB30_26
.LBB30_27:                              ;   in Loop: Header=BB30_24 Depth=1
	s_and_saveexec_b32 s34, s1
	s_cbranch_execz .LBB30_23
; %bb.28:                               ;   in Loop: Header=BB30_24 Depth=1
	v_lshl_add_u32 v16, v14, 2, 0
	ds_store_b32 v16, v15 offset:4
	s_branch .LBB30_23
.LBB30_29:
	s_or_b32 exec_lo, exec_lo, s3
	s_cmp_lg_u32 s41, 0
	s_mov_b32 s4, 0
	s_waitcnt lgkmcnt(0)
	s_barrier
	buffer_gl0_inv
	s_cbranch_scc1 .LBB30_38
; %bb.30:
	v_mov_b32_e32 v1, 0
	s_cmp_lt_i32 s9, 1
	s_cbranch_scc1 .LBB30_35
; %bb.31:
	v_lshlrev_b32_e32 v1, 2, v10
	v_cmp_eq_u32_e32 vcc_lo, 0, v10
	v_cmp_lt_u32_e64 s1, 15, v10
	s_add_i32 s5, s25, -1
	s_delay_alu instid0(VALU_DEP_3) | instskip(SKIP_1) | instid1(VALU_DEP_2)
	v_and_b32_e32 v2, 64, v1
	v_add3_u32 v3, v1, 0, 4
	v_add_nc_u32_e32 v2, -4, v2
	s_set_inst_prefetch_distance 0x1
	s_branch .LBB30_33
	.p2align	6
.LBB30_32:                              ;   in Loop: Header=BB30_33 Depth=1
	s_or_b32 exec_lo, exec_lo, s24
	v_add_nc_u32_e32 v3, 0x80, v3
	s_add_i32 s4, s4, 32
	s_waitcnt vmcnt(48) lgkmcnt(7)
	s_cmp_lt_i32 s4, s9
	s_cbranch_scc0 .LBB30_35
.LBB30_33:                              ; =>This Inner Loop Header: Depth=1
	ds_load_b32 v1, v3
	v_cndmask_b32_e64 v4, 0, s4, vcc_lo
	s_mov_b32 s24, exec_lo
	s_delay_alu instid0(VALU_DEP_1) | instskip(SKIP_4) | instid1(VALU_DEP_1)
	v_lshl_add_u32 v4, v4, 2, 0
	s_waitcnt lgkmcnt(0)
	v_add_nc_u32_e32 v11, s5, v1
	ds_load_b32 v1, v4
	v_mul_hi_u32 v4, v11, s26
	v_add_nc_u32_e32 v4, v11, v4
	s_delay_alu instid0(VALU_DEP_1) | instskip(SKIP_1) | instid1(VALU_DEP_1)
	v_lshrrev_b32_e32 v4, s27, v4
	s_waitcnt lgkmcnt(0)
	v_mad_u64_u32 v[11:12], null, v4, s25, v[1:2]
	s_delay_alu instid0(VALU_DEP_1) | instskip(SKIP_1) | instid1(VALU_DEP_2)
	v_add_nc_u32_dpp v1, v11, v11 row_shr:1 row_mask:0xf bank_mask:0xf bound_ctrl:1
	v_add_nc_u32_e32 v11, s4, v10
	v_add_nc_u32_dpp v1, v1, v1 row_shr:2 row_mask:0xf bank_mask:0xf bound_ctrl:1
	s_delay_alu instid0(VALU_DEP_1) | instskip(NEXT) | instid1(VALU_DEP_1)
	v_add_nc_u32_dpp v1, v1, v1 row_shr:4 row_mask:0xf bank_mask:0xf bound_ctrl:1
	v_add_nc_u32_dpp v1, v1, v1 row_shr:8 row_mask:0xf bank_mask:0xf bound_ctrl:1
	ds_bpermute_b32 v4, v2, v1
	s_waitcnt lgkmcnt(0)
	v_cndmask_b32_e64 v4, 0, v4, s1
	s_delay_alu instid0(VALU_DEP_1)
	v_add_nc_u32_e32 v1, v1, v4
	v_cmpx_gt_i32_e64 s9, v11
	s_cbranch_execz .LBB30_32
; %bb.34:                               ;   in Loop: Header=BB30_33 Depth=1
	ds_store_b32 v3, v1
	s_branch .LBB30_32
.LBB30_35:
	s_set_inst_prefetch_distance 0x2
	v_add3_u32 v2, v10, s4, 0xffffffe1
	s_mov_b32 s1, exec_lo
	s_delay_alu instid0(VALU_DEP_1)
	v_cmpx_eq_u32_e64 s9, v2
	s_cbranch_execz .LBB30_37
; %bb.36:
	v_dual_mov_b32 v3, 0 :: v_dual_mov_b32 v2, s8
	global_store_b64 v3, v[1:2], s[22:23]
.LBB30_37:
	s_or_b32 exec_lo, exec_lo, s1
.LBB30_38:
	s_cmp_eq_u64 s[6:7], 0
	s_waitcnt lgkmcnt(0)
	s_waitcnt_vscnt null, 0x0
	s_barrier
	buffer_gl0_inv
	s_cbranch_scc1 .LBB30_43
; %bb.39:
	s_mul_i32 s3, s28, s8
	s_mov_b32 s4, exec_lo
	v_cmpx_gt_i32_e64 s3, v0
	s_cbranch_execz .LBB30_42
; %bb.40:
	v_add_co_u32 v1, s1, s12, v7
	s_delay_alu instid0(VALU_DEP_1) | instskip(SKIP_1) | instid1(VALU_DEP_1)
	v_add_co_ci_u32_e64 v2, null, s13, 0, s1
	v_add_co_u32 v3, s1, s6, v7
	v_add_co_ci_u32_e64 v4, null, s7, 0, s1
	v_mov_b32_e32 v11, v0
	s_mov_b32 s5, 0
	.p2align	6
.LBB30_41:                              ; =>This Inner Loop Header: Depth=1
	global_load_b32 v12, v[1:2], off
	v_add_nc_u32_e32 v11, 0x100, v11
	v_add_co_u32 v1, vcc_lo, 0x400, v1
	v_add_co_ci_u32_e32 v2, vcc_lo, 0, v2, vcc_lo
	s_delay_alu instid0(VALU_DEP_3) | instskip(SKIP_4) | instid1(VALU_DEP_1)
	v_cmp_le_i32_e32 vcc_lo, s3, v11
	s_or_b32 s5, vcc_lo, s5
	s_waitcnt vmcnt(0)
	global_store_b32 v[3:4], v12, off
	v_add_co_u32 v3, s1, 0x400, v3
	v_add_co_ci_u32_e64 v4, s1, 0, v4, s1
	s_and_not1_b32 exec_lo, exec_lo, s5
	s_cbranch_execnz .LBB30_41
.LBB30_42:
	s_or_b32 exec_lo, exec_lo, s4
	s_waitcnt_vscnt null, 0x0
	s_barrier
	buffer_gl0_inv
.LBB30_43:
	s_lshl_b32 s4, s9, 2
	v_cmp_gt_i32_e64 s1, s9, v0
	s_add_i32 s5, s4, 0
	s_mov_b32 s6, 0
	s_add_i32 s22, s5, 4
	s_delay_alu instid0(VALU_DEP_1)
	s_and_saveexec_b32 s7, s1
	s_cbranch_execz .LBB30_49
; %bb.44:
	v_dual_mov_b32 v2, 0 :: v_dual_mov_b32 v11, v0
	s_set_inst_prefetch_distance 0x1
	s_branch .LBB30_46
	.p2align	6
.LBB30_45:                              ;   in Loop: Header=BB30_46 Depth=1
	s_or_b32 exec_lo, exec_lo, s23
	v_add_nc_u32_e32 v11, 0x100, v11
	s_delay_alu instid0(VALU_DEP_1) | instskip(SKIP_1) | instid1(SALU_CYCLE_1)
	v_cmp_le_i32_e32 vcc_lo, s9, v11
	s_or_b32 s6, vcc_lo, s6
	s_and_not1_b32 exec_lo, exec_lo, s6
	s_cbranch_execz .LBB30_49
.LBB30_46:                              ; =>This Loop Header: Depth=1
                                        ;     Child Loop BB30_48 Depth 2
	s_delay_alu instid0(VALU_DEP_1) | instskip(SKIP_1) | instid1(VALU_DEP_1)
	v_lshlrev_b32_e32 v1, 2, v11
	s_mov_b32 s23, exec_lo
	v_add_nc_u32_e32 v3, 0, v1
	v_add_nc_u32_e32 v1, s22, v1
	ds_load_2addr_b32 v[3:4], v3 offset1:1
	s_waitcnt lgkmcnt(0)
	ds_store_b32 v1, v3
	v_cmpx_lt_i32_e64 v3, v4
	s_cbranch_execz .LBB30_45
; %bb.47:                               ;   in Loop: Header=BB30_46 Depth=1
	s_mov_b32 s24, 0
	.p2align	6
.LBB30_48:                              ;   Parent Loop BB30_46 Depth=1
                                        ; =>  This Inner Loop Header: Depth=2
	v_mul_hi_u32 v1, s26, v3
	s_delay_alu instid0(VALU_DEP_1) | instskip(SKIP_1) | instid1(VALU_DEP_2)
	v_add_nc_u32_e32 v1, v3, v1
	v_add_nc_u32_e32 v3, s25, v3
	v_lshrrev_b32_e32 v1, s27, v1
	s_delay_alu instid0(VALU_DEP_2) | instskip(NEXT) | instid1(VALU_DEP_2)
	v_cmp_ge_i32_e32 vcc_lo, v3, v4
	v_lshlrev_b64 v[12:13], 2, v[1:2]
	s_or_b32 s24, vcc_lo, s24
	s_delay_alu instid0(VALU_DEP_1) | instskip(NEXT) | instid1(VALU_DEP_1)
	v_add_co_u32 v12, s3, s20, v12
	v_add_co_ci_u32_e64 v13, s3, s21, v13, s3
	global_store_b32 v[12:13], v11, off
	s_and_not1_b32 exec_lo, exec_lo, s24
	s_cbranch_execnz .LBB30_48
	s_branch .LBB30_45
.LBB30_49:
	s_set_inst_prefetch_distance 0x2
	s_or_b32 exec_lo, exec_lo, s7
	s_add_i32 s3, s5, s4
	s_delay_alu instid0(SALU_CYCLE_1)
	v_dual_mov_b32 v1, s5 :: v_dual_mov_b32 v2, s3
	s_waitcnt lgkmcnt(0)
	s_waitcnt_vscnt null, 0x0
	s_barrier
	buffer_gl0_inv
	ds_load_b32 v1, v1
	s_and_not1_b32 vcc_lo, exec_lo, s40
	s_waitcnt lgkmcnt(0)
	ds_store_b32 v2, v1 offset:4
	s_cbranch_vccnz .LBB30_69
; %bb.50:
	s_sub_i32 s5, s37, s31
	s_add_u32 s23, s16, -4
	s_addc_u32 s24, s17, -1
	s_add_u32 s25, s14, -4
	s_addc_u32 s26, s15, -1
	v_dual_mov_b32 v14, 0 :: v_dual_and_b32 v1, 8, v10
	s_add_u32 s27, s18, -4
	s_addc_u32 s31, s19, -1
	s_lshl_b32 s35, s9, 3
	s_delay_alu instid0(VALU_DEP_1)
	v_cmp_eq_u32_e64 s4, 0, v1
	v_add3_u32 v5, v6, s35, v5
	v_mad_u64_u32 v[1:2], null, v0, s10, 0
	v_mad_u64_u32 v[3:4], null, v0, s29, 0
	v_mul_lo_u32 v12, s28, v8
	s_add_i32 s14, s35, 0
	s_mov_b32 s7, 0
	v_cmp_gt_i32_e32 vcc_lo, s39, v0
	v_cmp_gt_i32_e64 s3, s33, v8
	v_or_b32_e32 v10, 28, v7
	v_add3_u32 v11, s14, v7, 8
	v_add3_u32 v13, v5, 0, 8
	s_mov_b32 s6, s10
	s_mov_b32 s20, s29
	;; [unrolled: 1-line block ×3, first 2 shown]
	s_lshl_b32 s35, s9, 5
	s_lshl_b32 s34, s5, 2
	s_lshl_b64 s[14:15], s[6:7], 8
	s_sub_i32 s10, 0, s28
	s_lshl_b64 s[20:21], s[20:21], 8
	s_lshl_b32 s29, s28, 3
	s_add_i32 s35, s35, 32
	s_mov_b32 s40, s7
	s_branch .LBB30_52
.LBB30_51:                              ;   in Loop: Header=BB30_52 Depth=1
	s_or_b32 exec_lo, exec_lo, s41
	v_add_nc_u32_e32 v12, s39, v12
	s_add_i32 s40, s40, s33
	s_add_i32 s7, s7, s39
	s_cmp_ge_i32 s40, s8
	s_waitcnt lgkmcnt(0)
	s_waitcnt_vscnt null, 0x0
	s_barrier
	buffer_gl0_inv
	s_cbranch_scc1 .LBB30_69
.LBB30_52:                              ; =>This Loop Header: Depth=1
                                        ;     Child Loop BB30_54 Depth 2
                                        ;     Child Loop BB30_58 Depth 2
	;; [unrolled: 1-line block ×3, first 2 shown]
                                        ;       Child Loop BB30_67 Depth 3
	s_and_saveexec_b32 s41, s2
	s_cbranch_execz .LBB30_55
; %bb.53:                               ;   in Loop: Header=BB30_52 Depth=1
	v_dual_mov_b32 v6, v2 :: v_dual_mov_b32 v5, v1
	v_mov_b32_e32 v7, v11
	v_mov_b32_e32 v15, v0
	s_mov_b32 s42, 0
	.p2align	6
.LBB30_54:                              ;   Parent Loop BB30_52 Depth=1
                                        ; =>  This Inner Loop Header: Depth=2
	s_delay_alu instid0(VALU_DEP_1) | instskip(SKIP_2) | instid1(VALU_DEP_1)
	v_add_nc_u32_e32 v16, v15, v6
	v_add_nc_u32_e32 v15, 0x100, v15
	v_add_co_u32 v5, s5, v5, s14
	v_add_co_ci_u32_e64 v6, s5, s15, v6, s5
	s_delay_alu instid0(VALU_DEP_4) | instskip(NEXT) | instid1(VALU_DEP_4)
	v_lshrrev_b32_e32 v18, s11, v16
	v_cmp_le_i32_e64 s6, s36, v15
	s_delay_alu instid0(VALU_DEP_2) | instskip(SKIP_1) | instid1(VALU_DEP_3)
	v_mad_u64_u32 v[16:17], null, s34, v18, v[7:8]
	v_add_nc_u32_e32 v7, 0x400, v7
	s_or_b32 s42, s6, s42
	ds_store_b32 v16, v14
	s_and_not1_b32 exec_lo, exec_lo, s42
	s_cbranch_execnz .LBB30_54
.LBB30_55:                              ;   in Loop: Header=BB30_52 Depth=1
	s_or_b32 exec_lo, exec_lo, s41
	s_waitcnt lgkmcnt(0)
	s_barrier
	buffer_gl0_inv
	s_and_saveexec_b32 s41, vcc_lo
	s_cbranch_execz .LBB30_60
; %bb.56:                               ;   in Loop: Header=BB30_52 Depth=1
	v_dual_mov_b32 v6, v4 :: v_dual_mov_b32 v5, v3
	v_mov_b32_e32 v7, v0
	s_mov_b32 s42, 0
	s_set_inst_prefetch_distance 0x1
	s_branch .LBB30_58
	.p2align	6
.LBB30_57:                              ;   in Loop: Header=BB30_58 Depth=2
	s_or_b32 exec_lo, exec_lo, s6
	v_add_nc_u32_e32 v7, 0x100, v7
	v_add_co_u32 v5, s6, v5, s20
	s_delay_alu instid0(VALU_DEP_1) | instskip(NEXT) | instid1(VALU_DEP_3)
	v_add_co_ci_u32_e64 v6, s6, s21, v6, s6
	v_cmp_le_i32_e64 s5, s39, v7
	s_delay_alu instid0(VALU_DEP_1) | instskip(NEXT) | instid1(SALU_CYCLE_1)
	s_or_b32 s42, s5, s42
	s_and_not1_b32 exec_lo, exec_lo, s42
	s_cbranch_execz .LBB30_60
.LBB30_58:                              ;   Parent Loop BB30_52 Depth=1
                                        ; =>  This Inner Loop Header: Depth=2
	s_delay_alu instid0(VALU_DEP_1) | instskip(SKIP_1) | instid1(VALU_DEP_1)
	v_add_nc_u32_e32 v15, v7, v6
	s_mov_b32 s6, exec_lo
	v_lshrrev_b32_e32 v15, s30, v15
	s_delay_alu instid0(VALU_DEP_1) | instskip(NEXT) | instid1(VALU_DEP_1)
	v_add_nc_u32_e32 v16, s40, v15
	v_cmpx_gt_i32_e64 s8, v16
	s_cbranch_execz .LBB30_57
; %bb.59:                               ;   in Loop: Header=BB30_58 Depth=2
	v_add_nc_u32_e32 v16, s7, v7
	s_delay_alu instid0(VALU_DEP_1) | instskip(NEXT) | instid1(VALU_DEP_1)
	v_ashrrev_i32_e32 v17, 31, v16
	v_lshlrev_b64 v[16:17], 2, v[16:17]
	s_delay_alu instid0(VALU_DEP_1) | instskip(NEXT) | instid1(VALU_DEP_1)
	v_add_co_u32 v16, s5, s12, v16
	v_add_co_ci_u32_e64 v17, s5, s13, v17, s5
	global_load_b32 v16, v[16:17], off
	v_mul_lo_u32 v17, v15, s37
	v_mul_lo_u32 v15, s10, v15
	s_delay_alu instid0(VALU_DEP_2) | instskip(NEXT) | instid1(VALU_DEP_2)
	v_lshlrev_b32_e32 v17, 2, v17
	v_add3_u32 v15, v7, v15, 1
	s_waitcnt vmcnt(0)
	v_lshlrev_b32_e32 v16, 2, v16
	s_delay_alu instid0(VALU_DEP_1)
	v_add3_u32 v16, s38, v16, v17
	ds_store_b32 v16, v15
	s_branch .LBB30_57
.LBB30_60:                              ;   in Loop: Header=BB30_52 Depth=1
	s_set_inst_prefetch_distance 0x2
	s_or_b32 exec_lo, exec_lo, s41
	s_waitcnt lgkmcnt(0)
	s_barrier
	buffer_gl0_inv
	s_and_saveexec_b32 s41, s0
	s_cbranch_execz .LBB30_51
; %bb.61:                               ;   in Loop: Header=BB30_52 Depth=1
	v_mov_b32_e32 v5, v13
	v_mov_b32_e32 v6, v9
	s_mov_b32 s42, 0
	s_branch .LBB30_64
.LBB30_62:                              ;   in Loop: Header=BB30_64 Depth=2
	s_or_b32 exec_lo, exec_lo, s44
.LBB30_63:                              ;   in Loop: Header=BB30_64 Depth=2
	s_delay_alu instid0(SALU_CYCLE_1)
	s_or_b32 exec_lo, exec_lo, s43
	v_add_nc_u32_e32 v6, 32, v6
	v_add_nc_u32_e32 v5, 0x80, v5
	s_waitcnt lgkmcnt(0)
	ds_store_b32 v7, v15
	v_cmp_le_i32_e64 s5, s9, v6
	s_delay_alu instid0(VALU_DEP_1) | instskip(NEXT) | instid1(SALU_CYCLE_1)
	s_or_b32 s42, s5, s42
	s_and_not1_b32 exec_lo, exec_lo, s42
	s_cbranch_execz .LBB30_51
.LBB30_64:                              ;   Parent Loop BB30_52 Depth=1
                                        ; =>  This Loop Header: Depth=2
                                        ;       Child Loop BB30_67 Depth 3
	s_delay_alu instid0(VALU_DEP_1)
	v_lshl_add_u32 v7, v6, 2, 0
	ds_load_b32 v15, v7
	s_and_saveexec_b32 s43, s3
	s_cbranch_execz .LBB30_63
; %bb.65:                               ;   in Loop: Header=BB30_64 Depth=2
	v_dual_mov_b32 v16, v5 :: v_dual_mov_b32 v17, v12
	v_mov_b32_e32 v18, v8
	s_mov_b32 s44, 0
	s_branch .LBB30_67
.LBB30_66:                              ;   in Loop: Header=BB30_67 Depth=3
	s_or_b32 exec_lo, exec_lo, s6
	ds_bpermute_b32 v19, v10, v19
	v_add_nc_u32_e32 v18, 8, v18
	v_add_nc_u32_e32 v17, s29, v17
	;; [unrolled: 1-line block ×3, first 2 shown]
	s_delay_alu instid0(VALU_DEP_3) | instskip(NEXT) | instid1(VALU_DEP_1)
	v_cmp_le_i32_e64 s5, s33, v18
	s_or_b32 s44, s5, s44
	s_waitcnt lgkmcnt(0)
	v_add_nc_u32_e32 v15, v19, v15
	s_and_not1_b32 exec_lo, exec_lo, s44
	s_cbranch_execz .LBB30_62
.LBB30_67:                              ;   Parent Loop BB30_52 Depth=1
                                        ;     Parent Loop BB30_64 Depth=2
                                        ; =>    This Inner Loop Header: Depth=3
	ds_load_b32 v20, v16
	s_waitcnt lgkmcnt(0)
	v_cmp_ne_u32_e64 s5, 0, v20
	s_delay_alu instid0(VALU_DEP_1) | instskip(NEXT) | instid1(VALU_DEP_1)
	v_cndmask_b32_e64 v19, 0, 1, s5
	v_mov_b32_dpp v19, v19 row_shr:1 row_mask:0xf bank_mask:0xf bound_ctrl:1
	s_delay_alu instid0(VALU_DEP_1) | instskip(NEXT) | instid1(VALU_DEP_1)
	v_add_co_ci_u32_e64 v21, s6, 0, v19, s5
	v_mov_b32_dpp v21, v21 row_shr:2 row_mask:0xf bank_mask:0xf bound_ctrl:1
	s_delay_alu instid0(VALU_DEP_1) | instskip(NEXT) | instid1(VALU_DEP_1)
	v_add_co_ci_u32_e64 v19, s6, v21, v19, s5
	v_add_nc_u32_dpp v19, v19, v19 row_shr:4 row_mask:0xf bank_mask:0xf bound_ctrl:1
	s_delay_alu instid0(VALU_DEP_1) | instskip(NEXT) | instid1(VALU_DEP_1)
	v_add_nc_u32_dpp v19, v19, v19 row_shr:8 row_mask:0xf bank_mask:0xf bound_ctrl:1
	v_mov_b32_dpp v21, v19 row_share:7 row_mask:0xf bank_mask:0xf bound_ctrl:1
	s_delay_alu instid0(VALU_DEP_1) | instskip(NEXT) | instid1(VALU_DEP_1)
	v_cndmask_b32_e64 v21, v21, 0, s4
	v_sub_nc_u32_e32 v19, v19, v21
	s_and_saveexec_b32 s6, s5
	s_cbranch_execz .LBB30_66
; %bb.68:                               ;   in Loop: Header=BB30_67 Depth=3
	v_add_nc_u32_e32 v21, v17, v20
	v_add_nc_u32_e32 v23, s40, v18
	s_delay_alu instid0(VALU_DEP_2) | instskip(NEXT) | instid1(VALU_DEP_2)
	v_ashrrev_i32_e32 v22, 31, v21
	v_perm_b32 v23, v20, v23, 0x4020100
	s_delay_alu instid0(VALU_DEP_2) | instskip(NEXT) | instid1(VALU_DEP_2)
	v_lshlrev_b64 v[21:22], 2, v[21:22]
	v_add_nc_u32_e32 v25, 0xff000000, v23
	s_delay_alu instid0(VALU_DEP_2) | instskip(NEXT) | instid1(VALU_DEP_1)
	v_add_co_u32 v21, s5, s25, v21
	v_add_co_ci_u32_e64 v22, s5, s26, v22, s5
	global_load_b32 v24, v[21:22], off
	v_add_nc_u32_e32 v21, v19, v15
	s_delay_alu instid0(VALU_DEP_1) | instskip(NEXT) | instid1(VALU_DEP_1)
	v_ashrrev_i32_e32 v22, 31, v21
	v_lshlrev_b64 v[20:21], 2, v[21:22]
	s_delay_alu instid0(VALU_DEP_1) | instskip(NEXT) | instid1(VALU_DEP_1)
	v_add_co_u32 v22, s5, s23, v20
	v_add_co_ci_u32_e64 v23, s5, s24, v21, s5
	v_add_co_u32 v20, s5, s27, v20
	s_delay_alu instid0(VALU_DEP_1)
	v_add_co_ci_u32_e64 v21, s5, s31, v21, s5
	global_store_b32 v[22:23], v25, off
	s_waitcnt vmcnt(0)
	global_store_b32 v[20:21], v24, off
	s_branch .LBB30_66
.LBB30_69:
	s_and_saveexec_b32 s0, s1
	s_cbranch_execz .LBB30_75
; %bb.70:
	v_mov_b32_e32 v6, 0
	s_and_b32 s0, s8, 0xffffff
	s_lshl_b32 s1, s28, 24
	s_add_i32 s22, s22, 4
	s_or_b32 s1, s1, s0
	s_mov_b32 s2, 0
	s_set_inst_prefetch_distance 0x1
	s_branch .LBB30_72
	.p2align	6
.LBB30_71:                              ;   in Loop: Header=BB30_72 Depth=1
	s_or_b32 exec_lo, exec_lo, s3
	v_add_nc_u32_e32 v0, 0x100, v0
	s_delay_alu instid0(VALU_DEP_1) | instskip(SKIP_1) | instid1(SALU_CYCLE_1)
	v_cmp_le_i32_e32 vcc_lo, s9, v0
	s_or_b32 s2, vcc_lo, s2
	s_and_not1_b32 exec_lo, exec_lo, s2
	s_cbranch_execz .LBB30_75
.LBB30_72:                              ; =>This Loop Header: Depth=1
                                        ;     Child Loop BB30_74 Depth 2
	v_lshlrev_b32_e32 v1, 2, v0
	s_mov_b32 s3, exec_lo
	s_delay_alu instid0(VALU_DEP_1)
	v_add_nc_u32_e32 v2, 0, v1
	v_add_nc_u32_e32 v3, s22, v1
	ds_load_b32 v1, v2
	ds_load_b32 v7, v3
	s_waitcnt lgkmcnt(0)
	v_cmpx_lt_i32_e64 v1, v7
	s_cbranch_execz .LBB30_71
; %bb.73:                               ;   in Loop: Header=BB30_72 Depth=1
	v_ashrrev_i32_e32 v2, 31, v1
	s_mov_b32 s4, 0
	s_delay_alu instid0(VALU_DEP_1) | instskip(NEXT) | instid1(VALU_DEP_1)
	v_lshlrev_b64 v[4:5], 2, v[1:2]
	v_add_co_u32 v2, vcc_lo, s16, v4
	s_delay_alu instid0(VALU_DEP_2)
	v_add_co_ci_u32_e32 v3, vcc_lo, s17, v5, vcc_lo
	v_add_co_u32 v4, vcc_lo, s18, v4
	v_add_co_ci_u32_e32 v5, vcc_lo, s19, v5, vcc_lo
	.p2align	6
.LBB30_74:                              ;   Parent Loop BB30_72 Depth=1
                                        ; =>  This Inner Loop Header: Depth=2
	v_dual_mov_b32 v8, s1 :: v_dual_add_nc_u32 v1, 1, v1
	global_store_b32 v[4:5], v6, off
	v_add_co_u32 v4, vcc_lo, v4, 4
	v_add_co_ci_u32_e32 v5, vcc_lo, 0, v5, vcc_lo
	global_store_b32 v[2:3], v8, off
	v_cmp_ge_i32_e32 vcc_lo, v1, v7
	v_add_co_u32 v2, s0, v2, 4
	s_delay_alu instid0(VALU_DEP_1) | instskip(SKIP_1) | instid1(SALU_CYCLE_1)
	v_add_co_ci_u32_e64 v3, s0, 0, v3, s0
	s_or_b32 s4, vcc_lo, s4
	s_and_not1_b32 exec_lo, exec_lo, s4
	s_cbranch_execnz .LBB30_74
	s_branch .LBB30_71
.LBB30_75:
	s_set_inst_prefetch_distance 0x2
	s_nop 0
	s_sendmsg sendmsg(MSG_DEALLOC_VGPRS)
	s_endpgm
	.section	.rodata,"a",@progbits
	.p2align	6, 0x0
	.amdhsa_kernel _ZN5aiter22opus_moe_sorting_entryINS_16MoeSortingKernelINS_19MoeSortingProblemExIifLi4ELb0ELb0ELb0ELb1ELi0EEEEENS4_5KargsEEEvT0_
		.amdhsa_group_segment_fixed_size 0
		.amdhsa_private_segment_fixed_size 0
		.amdhsa_kernarg_size 400
		.amdhsa_user_sgpr_count 15
		.amdhsa_user_sgpr_dispatch_ptr 0
		.amdhsa_user_sgpr_queue_ptr 0
		.amdhsa_user_sgpr_kernarg_segment_ptr 1
		.amdhsa_user_sgpr_dispatch_id 0
		.amdhsa_user_sgpr_private_segment_size 0
		.amdhsa_wavefront_size32 1
		.amdhsa_uses_dynamic_stack 0
		.amdhsa_enable_private_segment 0
		.amdhsa_system_sgpr_workgroup_id_x 1
		.amdhsa_system_sgpr_workgroup_id_y 0
		.amdhsa_system_sgpr_workgroup_id_z 0
		.amdhsa_system_sgpr_workgroup_info 0
		.amdhsa_system_vgpr_workitem_id 0
		.amdhsa_next_free_vgpr 28
		.amdhsa_next_free_sgpr 45
		.amdhsa_reserve_vcc 1
		.amdhsa_float_round_mode_32 0
		.amdhsa_float_round_mode_16_64 0
		.amdhsa_float_denorm_mode_32 3
		.amdhsa_float_denorm_mode_16_64 3
		.amdhsa_dx10_clamp 1
		.amdhsa_ieee_mode 1
		.amdhsa_fp16_overflow 0
		.amdhsa_workgroup_processor_mode 1
		.amdhsa_memory_ordered 1
		.amdhsa_forward_progress 0
		.amdhsa_shared_vgpr_count 0
		.amdhsa_exception_fp_ieee_invalid_op 0
		.amdhsa_exception_fp_denorm_src 0
		.amdhsa_exception_fp_ieee_div_zero 0
		.amdhsa_exception_fp_ieee_overflow 0
		.amdhsa_exception_fp_ieee_underflow 0
		.amdhsa_exception_fp_ieee_inexact 0
		.amdhsa_exception_int_div_zero 0
	.end_amdhsa_kernel
	.section	.text._ZN5aiter22opus_moe_sorting_entryINS_16MoeSortingKernelINS_19MoeSortingProblemExIifLi4ELb0ELb0ELb0ELb1ELi0EEEEENS4_5KargsEEEvT0_,"axG",@progbits,_ZN5aiter22opus_moe_sorting_entryINS_16MoeSortingKernelINS_19MoeSortingProblemExIifLi4ELb0ELb0ELb0ELb1ELi0EEEEENS4_5KargsEEEvT0_,comdat
.Lfunc_end30:
	.size	_ZN5aiter22opus_moe_sorting_entryINS_16MoeSortingKernelINS_19MoeSortingProblemExIifLi4ELb0ELb0ELb0ELb1ELi0EEEEENS4_5KargsEEEvT0_, .Lfunc_end30-_ZN5aiter22opus_moe_sorting_entryINS_16MoeSortingKernelINS_19MoeSortingProblemExIifLi4ELb0ELb0ELb0ELb1ELi0EEEEENS4_5KargsEEEvT0_
                                        ; -- End function
	.section	.AMDGPU.csdata,"",@progbits
; Kernel info:
; codeLenInByte = 3716
; NumSgprs: 47
; NumVgprs: 28
; ScratchSize: 0
; MemoryBound: 0
; FloatMode: 240
; IeeeMode: 1
; LDSByteSize: 0 bytes/workgroup (compile time only)
; SGPRBlocks: 5
; VGPRBlocks: 3
; NumSGPRsForWavesPerEU: 47
; NumVGPRsForWavesPerEU: 28
; Occupancy: 16
; WaveLimiterHint : 1
; COMPUTE_PGM_RSRC2:SCRATCH_EN: 0
; COMPUTE_PGM_RSRC2:USER_SGPR: 15
; COMPUTE_PGM_RSRC2:TRAP_HANDLER: 0
; COMPUTE_PGM_RSRC2:TGID_X_EN: 1
; COMPUTE_PGM_RSRC2:TGID_Y_EN: 0
; COMPUTE_PGM_RSRC2:TGID_Z_EN: 0
; COMPUTE_PGM_RSRC2:TIDIG_COMP_CNT: 0
	.section	.text._ZN5aiter22opus_moe_sorting_entryINS_16MoeSortingKernelINS_19MoeSortingProblemExIifLi2ELb0ELb0ELb0ELb1ELi0EEEEENS4_5KargsEEEvT0_,"axG",@progbits,_ZN5aiter22opus_moe_sorting_entryINS_16MoeSortingKernelINS_19MoeSortingProblemExIifLi2ELb0ELb0ELb0ELb1ELi0EEEEENS4_5KargsEEEvT0_,comdat
	.protected	_ZN5aiter22opus_moe_sorting_entryINS_16MoeSortingKernelINS_19MoeSortingProblemExIifLi2ELb0ELb0ELb0ELb1ELi0EEEEENS4_5KargsEEEvT0_ ; -- Begin function _ZN5aiter22opus_moe_sorting_entryINS_16MoeSortingKernelINS_19MoeSortingProblemExIifLi2ELb0ELb0ELb0ELb1ELi0EEEEENS4_5KargsEEEvT0_
	.globl	_ZN5aiter22opus_moe_sorting_entryINS_16MoeSortingKernelINS_19MoeSortingProblemExIifLi2ELb0ELb0ELb0ELb1ELi0EEEEENS4_5KargsEEEvT0_
	.p2align	8
	.type	_ZN5aiter22opus_moe_sorting_entryINS_16MoeSortingKernelINS_19MoeSortingProblemExIifLi2ELb0ELb0ELb0ELb1ELi0EEEEENS4_5KargsEEEvT0_,@function
_ZN5aiter22opus_moe_sorting_entryINS_16MoeSortingKernelINS_19MoeSortingProblemExIifLi2ELb0ELb0ELb0ELb1ELi0EEEEENS4_5KargsEEEvT0_: ; @_ZN5aiter22opus_moe_sorting_entryINS_16MoeSortingKernelINS_19MoeSortingProblemExIifLi2ELb0ELb0ELb0ELb1ELi0EEEEENS4_5KargsEEEvT0_
; %bb.0:
	s_clause 0x1
	s_load_b256 s[16:23], s[0:1], 0x20
	s_load_b256 s[4:11], s[0:1], 0x40
	s_cmp_eq_u32 s15, 0
	s_cbranch_scc1 .LBB31_7
; %bb.1:
	s_waitcnt lgkmcnt(0)
	s_cmp_eq_u64 s[4:5], 0
	s_cbranch_scc1 .LBB31_6
; %bb.2:
	s_mul_i32 s2, s10, s8
	s_ashr_i32 s3, s11, 31
	s_mul_hi_u32 s12, s2, s11
	s_mul_i32 s3, s2, s3
	s_mul_hi_i32 s10, s10, s8
	s_add_i32 s3, s12, s3
	s_mul_i32 s10, s10, s11
	s_mul_i32 s2, s2, s11
	s_add_i32 s3, s3, s10
	v_mov_b32_e32 v2, 0
	s_ashr_i32 s10, s3, 31
	s_mov_b32 s13, 0
	s_lshr_b32 s10, s10, 28
	s_delay_alu instid0(SALU_CYCLE_1) | instskip(SKIP_2) | instid1(SALU_CYCLE_1)
	s_add_u32 s2, s2, s10
	s_addc_u32 s3, s3, 0
	s_lshl_b32 s10, s15, 8
	v_add3_u32 v1, v0, s10, 0xffffff00
	s_ashr_i64 s[10:11], s[2:3], 4
	s_mov_b32 s3, exec_lo
	s_delay_alu instid0(VALU_DEP_1)
	v_cmpx_gt_i64_e64 s[10:11], v[1:2]
	s_cbranch_execz .LBB31_5
; %bb.3:
	s_load_b32 s2, s[0:1], 0x90
	v_lshlrev_b64 v[3:4], 4, v[1:2]
	v_dual_mov_b32 v6, v2 :: v_dual_mov_b32 v5, v1
	v_mov_b32_e32 v1, v2
	s_delay_alu instid0(VALU_DEP_3) | instskip(NEXT) | instid1(VALU_DEP_4)
	v_add_co_u32 v7, vcc_lo, s4, v3
	v_add_co_ci_u32_e32 v8, vcc_lo, s5, v4, vcc_lo
	v_mov_b32_e32 v3, v2
	v_mov_b32_e32 v4, v2
	s_waitcnt lgkmcnt(0)
	s_lshl_b32 s2, s2, 8
	s_delay_alu instid0(SALU_CYCLE_1) | instskip(NEXT) | instid1(SALU_CYCLE_1)
	s_add_i32 s12, s2, 0xffffff00
	s_lshl_b64 s[4:5], s[12:13], 4
.LBB31_4:                               ; =>This Inner Loop Header: Depth=1
	v_add_co_u32 v5, vcc_lo, v5, s12
	v_add_co_ci_u32_e32 v6, vcc_lo, 0, v6, vcc_lo
	global_store_b128 v[7:8], v[1:4], off
	v_add_co_u32 v7, s2, v7, s4
	v_cmp_le_i64_e32 vcc_lo, s[10:11], v[5:6]
	v_add_co_ci_u32_e64 v8, s2, s5, v8, s2
	s_or_b32 s13, vcc_lo, s13
	s_delay_alu instid0(SALU_CYCLE_1)
	s_and_not1_b32 exec_lo, exec_lo, s13
	s_cbranch_execnz .LBB31_4
.LBB31_5:
	s_or_b32 exec_lo, exec_lo, s3
.LBB31_6:
	s_cbranch_execz .LBB31_8
	s_branch .LBB31_75
.LBB31_7:
.LBB31_8:
	s_load_b256 s[24:31], s[0:1], 0x64
	s_waitcnt lgkmcnt(0)
	s_load_b64 s[10:11], s[0:1], 0x84
	v_lshrrev_b32_e32 v1, 5, v0
	v_lshlrev_b32_e32 v7, 2, v0
	s_add_i32 s37, s9, 1
	s_delay_alu instid0(VALU_DEP_2) | instskip(SKIP_1) | instid1(SALU_CYCLE_1)
	v_readfirstlane_b32 s41, v1
	s_add_i32 s33, s24, -2
	s_mul_i32 s36, s33, s9
	s_delay_alu instid0(SALU_CYCLE_1) | instskip(NEXT) | instid1(VALU_DEP_1)
	v_cmp_gt_i32_e64 s2, s36, v0
	s_and_saveexec_b32 s14, s2
	s_cbranch_execz .LBB31_11
; %bb.9:
	s_lshl_b32 s3, s9, 3
	s_waitcnt lgkmcnt(0)
	v_mad_u64_u32 v[1:2], null, v0, s10, 0
	s_add_i32 s3, s3, 0
	v_dual_mov_b32 v4, 0 :: v_dual_mov_b32 v5, v0
	v_add3_u32 v3, s3, v7, 8
	s_mov_b32 s5, 0
	s_sub_i32 s12, s37, s31
	s_mov_b32 s4, s10
	s_lshl_b32 s15, s12, 2
	s_lshl_b64 s[12:13], s[4:5], 8
	.p2align	6
.LBB31_10:                              ; =>This Inner Loop Header: Depth=1
	v_add_nc_u32_e32 v6, v5, v2
	v_add_nc_u32_e32 v5, 0x100, v5
	v_add_co_u32 v1, vcc_lo, v1, s12
	v_add_co_ci_u32_e32 v2, vcc_lo, s13, v2, vcc_lo
	s_delay_alu instid0(VALU_DEP_4) | instskip(NEXT) | instid1(VALU_DEP_4)
	v_lshrrev_b32_e32 v6, s11, v6
	v_cmp_le_i32_e64 s3, s36, v5
	s_delay_alu instid0(VALU_DEP_2) | instskip(SKIP_1) | instid1(VALU_DEP_3)
	v_mad_u64_u32 v[8:9], null, s15, v6, v[3:4]
	v_add_nc_u32_e32 v3, 0x400, v3
	s_or_b32 s5, s3, s5
	ds_store_b32 v8, v4
	s_and_not1_b32 exec_lo, exec_lo, s5
	s_cbranch_execnz .LBB31_10
.LBB31_11:
	s_or_b32 exec_lo, exec_lo, s14
	s_load_b128 s[12:15], s[0:1], 0x0
	s_lshl_b32 s0, s37, 3
	s_mul_i32 s39, s28, s33
	s_add_i32 s38, s0, 0
	v_cmp_gt_i32_e32 vcc_lo, s39, v0
	s_cmp_gt_i32 s8, 0
	s_mov_b32 s5, 0
	s_cselect_b32 s40, -1, 0
	s_cmp_lt_i32 s8, 1
	s_waitcnt lgkmcnt(0)
	s_waitcnt_vscnt null, 0x0
	s_barrier
	buffer_gl0_inv
	s_cbranch_scc1 .LBB31_19
; %bb.12:
	v_mad_u64_u32 v[1:2], null, v0, s29, 0
	v_mov_b32_e32 v4, 0
	s_mov_b32 s4, s29
	s_mov_b32 s3, 0
	s_lshl_b64 s[34:35], s[4:5], 8
	s_branch .LBB31_14
.LBB31_13:                              ;   in Loop: Header=BB31_14 Depth=1
	s_set_inst_prefetch_distance 0x2
	s_or_b32 exec_lo, exec_lo, s4
	s_add_i32 s3, s3, s33
	s_add_i32 s5, s5, s39
	s_cmp_ge_i32 s3, s8
	s_waitcnt lgkmcnt(0)
	s_barrier
	buffer_gl0_inv
	s_cbranch_scc1 .LBB31_19
.LBB31_14:                              ; =>This Loop Header: Depth=1
                                        ;     Child Loop BB31_17 Depth 2
	s_and_saveexec_b32 s4, vcc_lo
	s_cbranch_execz .LBB31_13
; %bb.15:                               ;   in Loop: Header=BB31_14 Depth=1
	v_dual_mov_b32 v6, v2 :: v_dual_mov_b32 v5, v1
	v_mov_b32_e32 v8, v0
	s_mov_b32 s42, 0
	s_set_inst_prefetch_distance 0x1
	s_branch .LBB31_17
	.p2align	6
.LBB31_16:                              ;   in Loop: Header=BB31_17 Depth=2
	s_or_b32 exec_lo, exec_lo, s1
	v_add_nc_u32_e32 v8, 0x100, v8
	v_add_co_u32 v5, s1, v5, s34
	s_delay_alu instid0(VALU_DEP_1) | instskip(NEXT) | instid1(VALU_DEP_3)
	v_add_co_ci_u32_e64 v6, s1, s35, v6, s1
	v_cmp_le_i32_e64 s0, s39, v8
	s_waitcnt vmcnt(48) lgkmcnt(7)
	s_delay_alu instid0(VALU_DEP_1) | instskip(NEXT) | instid1(SALU_CYCLE_1)
	s_or_b32 s42, s0, s42
	s_and_not1_b32 exec_lo, exec_lo, s42
	s_cbranch_execz .LBB31_13
.LBB31_17:                              ;   Parent Loop BB31_14 Depth=1
                                        ; =>  This Inner Loop Header: Depth=2
	s_delay_alu instid0(VALU_DEP_1) | instskip(SKIP_1) | instid1(VALU_DEP_1)
	v_add_nc_u32_e32 v3, v8, v6
	s_mov_b32 s1, exec_lo
	v_lshrrev_b32_e32 v9, s30, v3
	s_delay_alu instid0(VALU_DEP_1) | instskip(NEXT) | instid1(VALU_DEP_1)
	v_add_nc_u32_e32 v3, s3, v9
	v_cmpx_gt_i32_e64 s8, v3
	s_cbranch_execz .LBB31_16
; %bb.18:                               ;   in Loop: Header=BB31_17 Depth=2
	v_add_nc_u32_e32 v3, s5, v8
	v_mul_lo_u32 v9, v9, s37
	s_delay_alu instid0(VALU_DEP_2) | instskip(NEXT) | instid1(VALU_DEP_2)
	v_lshlrev_b64 v[10:11], 2, v[3:4]
	v_lshlrev_b32_e32 v9, 2, v9
	s_delay_alu instid0(VALU_DEP_2) | instskip(NEXT) | instid1(VALU_DEP_1)
	v_add_co_u32 v10, s0, s12, v10
	v_add_co_ci_u32_e64 v11, s0, s13, v11, s0
	global_load_b32 v3, v[10:11], off
	s_waitcnt vmcnt(0)
	v_lshlrev_b32_e32 v3, 2, v3
	s_delay_alu instid0(VALU_DEP_1)
	v_add3_u32 v3, s38, v3, v9
	ds_load_b32 v9, v3
	s_waitcnt lgkmcnt(0)
	v_add_nc_u32_e32 v9, 1, v9
	ds_store_b32 v3, v9
	s_branch .LBB31_16
.LBB31_19:
	s_mov_b32 s0, exec_lo
	v_cmpx_eq_u32_e32 0, v0
	s_cbranch_execz .LBB31_21
; %bb.20:
	v_mov_b32_e32 v1, 0
	ds_store_b32 v1, v1
.LBB31_21:
	s_or_b32 exec_lo, exec_lo, s0
	v_and_b32_e32 v8, 7, v0
	v_lshrrev_b32_e32 v9, 3, v0
	v_mbcnt_lo_u32_b32 v10, -1, 0
	s_mov_b32 s4, 0
	s_delay_alu instid0(VALU_DEP_3) | instskip(NEXT) | instid1(VALU_DEP_3)
	v_mul_lo_u32 v1, s37, v8
	v_cmp_gt_i32_e64 s0, s9, v9
	v_lshlrev_b32_e32 v6, 2, v9
	s_delay_alu instid0(VALU_DEP_3) | instskip(NEXT) | instid1(VALU_DEP_3)
	v_lshlrev_b32_e32 v5, 2, v1
	s_and_saveexec_b32 s3, s0
	s_cbranch_execz .LBB31_29
; %bb.22:
	s_cmp_gt_i32 s24, 2
	s_mul_i32 s1, s9, 40
	s_cselect_b32 s5, -1, 0
	s_lshl_b32 s24, s9, 3
	v_dual_mov_b32 v12, v9 :: v_dual_lshlrev_b32 v3, 2, v10
	v_add3_u32 v4, v5, s1, v6
	v_add3_u32 v11, v5, s24, v6
	v_cmp_eq_u32_e64 s1, 0, v8
	s_delay_alu instid0(VALU_DEP_4)
	v_xor_b32_e32 v1, 4, v3
	v_xor_b32_e32 v2, 8, v3
	;; [unrolled: 1-line block ×3, first 2 shown]
	v_add3_u32 v4, v4, 0, 40
	v_add3_u32 v11, v11, 0, 8
	s_lshl_b32 s24, s9, 6
	s_delay_alu instid0(SALU_CYCLE_1)
	s_add_i32 s24, s24, 64
	s_branch .LBB31_24
.LBB31_23:                              ;   in Loop: Header=BB31_24 Depth=1
	s_or_b32 exec_lo, exec_lo, s34
	v_add_nc_u32_e32 v12, 32, v12
	v_add_nc_u32_e32 v4, 0x80, v4
	v_add_nc_u32_e32 v11, 0x80, v11
	s_delay_alu instid0(VALU_DEP_3) | instskip(SKIP_1) | instid1(SALU_CYCLE_1)
	v_cmp_le_i32_e32 vcc_lo, s9, v12
	s_or_b32 s4, vcc_lo, s4
	s_and_not1_b32 exec_lo, exec_lo, s4
	s_cbranch_execz .LBB31_29
.LBB31_24:                              ; =>This Loop Header: Depth=1
                                        ;     Child Loop BB31_26 Depth 2
	v_mov_b32_e32 v13, 0
	s_and_not1_b32 vcc_lo, exec_lo, s5
	s_cbranch_vccnz .LBB31_27
; %bb.25:                               ;   in Loop: Header=BB31_24 Depth=1
	v_mov_b32_e32 v13, 0
	s_mov_b32 s34, 0
	s_mov_b32 s35, 0
	.p2align	6
.LBB31_26:                              ;   Parent Loop BB31_24 Depth=1
                                        ; =>  This Inner Loop Header: Depth=2
	v_add_nc_u32_e32 v14, s34, v11
	v_add_nc_u32_e32 v15, s34, v4
	s_add_i32 s35, s35, 16
	s_add_i32 s34, s34, s24
	s_cmp_lt_i32 s35, s33
	ds_load_b32 v14, v14
	ds_load_b32 v15, v15
	s_waitcnt lgkmcnt(1)
	ds_bpermute_b32 v16, v1, v14
	s_waitcnt lgkmcnt(1)
	ds_bpermute_b32 v17, v1, v15
	s_waitcnt lgkmcnt(1)
	v_add_nc_u32_e32 v14, v16, v14
	s_waitcnt lgkmcnt(0)
	v_add_nc_u32_e32 v15, v17, v15
	ds_bpermute_b32 v16, v2, v14
	ds_bpermute_b32 v17, v2, v15
	s_waitcnt lgkmcnt(1)
	v_add_nc_u32_e32 v14, v16, v14
	s_waitcnt lgkmcnt(0)
	v_add_nc_u32_e32 v15, v17, v15
	ds_bpermute_b32 v16, v3, v14
	ds_bpermute_b32 v17, v3, v15
	s_waitcnt lgkmcnt(1)
	v_add3_u32 v13, v14, v13, v16
	s_waitcnt lgkmcnt(0)
	s_delay_alu instid0(VALU_DEP_1)
	v_add3_u32 v13, v13, v15, v17
	s_cbranch_scc1 .LBB31_26
.LBB31_27:                              ;   in Loop: Header=BB31_24 Depth=1
	s_and_saveexec_b32 s34, s1
	s_cbranch_execz .LBB31_23
; %bb.28:                               ;   in Loop: Header=BB31_24 Depth=1
	v_lshl_add_u32 v14, v12, 2, 0
	ds_store_b32 v14, v13 offset:4
	s_branch .LBB31_23
.LBB31_29:
	s_or_b32 exec_lo, exec_lo, s3
	s_cmp_lg_u32 s41, 0
	s_mov_b32 s4, 0
	s_waitcnt lgkmcnt(0)
	s_barrier
	buffer_gl0_inv
	s_cbranch_scc1 .LBB31_38
; %bb.30:
	v_mov_b32_e32 v1, 0
	s_cmp_lt_i32 s9, 1
	s_cbranch_scc1 .LBB31_35
; %bb.31:
	v_lshlrev_b32_e32 v1, 2, v10
	v_cmp_eq_u32_e32 vcc_lo, 0, v10
	v_cmp_lt_u32_e64 s1, 15, v10
	s_add_i32 s5, s25, -1
	s_delay_alu instid0(VALU_DEP_3) | instskip(SKIP_1) | instid1(VALU_DEP_2)
	v_and_b32_e32 v2, 64, v1
	v_add3_u32 v3, v1, 0, 4
	v_add_nc_u32_e32 v2, -4, v2
	s_set_inst_prefetch_distance 0x1
	s_branch .LBB31_33
	.p2align	6
.LBB31_32:                              ;   in Loop: Header=BB31_33 Depth=1
	s_or_b32 exec_lo, exec_lo, s24
	v_add_nc_u32_e32 v3, 0x80, v3
	s_add_i32 s4, s4, 32
	s_waitcnt vmcnt(48) lgkmcnt(7)
	s_cmp_lt_i32 s4, s9
	s_cbranch_scc0 .LBB31_35
.LBB31_33:                              ; =>This Inner Loop Header: Depth=1
	ds_load_b32 v1, v3
	v_cndmask_b32_e64 v4, 0, s4, vcc_lo
	s_mov_b32 s24, exec_lo
	s_delay_alu instid0(VALU_DEP_1) | instskip(SKIP_4) | instid1(VALU_DEP_1)
	v_lshl_add_u32 v4, v4, 2, 0
	s_waitcnt lgkmcnt(0)
	v_add_nc_u32_e32 v11, s5, v1
	ds_load_b32 v1, v4
	v_mul_hi_u32 v4, v11, s26
	v_add_nc_u32_e32 v4, v11, v4
	s_delay_alu instid0(VALU_DEP_1) | instskip(SKIP_1) | instid1(VALU_DEP_1)
	v_lshrrev_b32_e32 v4, s27, v4
	s_waitcnt lgkmcnt(0)
	v_mad_u64_u32 v[11:12], null, v4, s25, v[1:2]
	s_delay_alu instid0(VALU_DEP_1) | instskip(SKIP_1) | instid1(VALU_DEP_2)
	v_add_nc_u32_dpp v1, v11, v11 row_shr:1 row_mask:0xf bank_mask:0xf bound_ctrl:1
	v_add_nc_u32_e32 v11, s4, v10
	v_add_nc_u32_dpp v1, v1, v1 row_shr:2 row_mask:0xf bank_mask:0xf bound_ctrl:1
	s_delay_alu instid0(VALU_DEP_1) | instskip(NEXT) | instid1(VALU_DEP_1)
	v_add_nc_u32_dpp v1, v1, v1 row_shr:4 row_mask:0xf bank_mask:0xf bound_ctrl:1
	v_add_nc_u32_dpp v1, v1, v1 row_shr:8 row_mask:0xf bank_mask:0xf bound_ctrl:1
	ds_bpermute_b32 v4, v2, v1
	s_waitcnt lgkmcnt(0)
	v_cndmask_b32_e64 v4, 0, v4, s1
	s_delay_alu instid0(VALU_DEP_1)
	v_add_nc_u32_e32 v1, v1, v4
	v_cmpx_gt_i32_e64 s9, v11
	s_cbranch_execz .LBB31_32
; %bb.34:                               ;   in Loop: Header=BB31_33 Depth=1
	ds_store_b32 v3, v1
	s_branch .LBB31_32
.LBB31_35:
	s_set_inst_prefetch_distance 0x2
	v_add3_u32 v2, v10, s4, 0xffffffe1
	s_mov_b32 s1, exec_lo
	s_delay_alu instid0(VALU_DEP_1)
	v_cmpx_eq_u32_e64 s9, v2
	s_cbranch_execz .LBB31_37
; %bb.36:
	v_dual_mov_b32 v3, 0 :: v_dual_mov_b32 v2, s8
	global_store_b64 v3, v[1:2], s[22:23]
.LBB31_37:
	s_or_b32 exec_lo, exec_lo, s1
.LBB31_38:
	s_cmp_eq_u64 s[6:7], 0
	s_waitcnt lgkmcnt(0)
	s_waitcnt_vscnt null, 0x0
	s_barrier
	buffer_gl0_inv
	s_cbranch_scc1 .LBB31_43
; %bb.39:
	s_mul_i32 s3, s28, s8
	s_mov_b32 s4, exec_lo
	v_cmpx_gt_i32_e64 s3, v0
	s_cbranch_execz .LBB31_42
; %bb.40:
	v_add_co_u32 v1, s1, s12, v7
	s_delay_alu instid0(VALU_DEP_1) | instskip(SKIP_1) | instid1(VALU_DEP_1)
	v_add_co_ci_u32_e64 v2, null, s13, 0, s1
	v_add_co_u32 v3, s1, s6, v7
	v_add_co_ci_u32_e64 v4, null, s7, 0, s1
	v_mov_b32_e32 v11, v0
	s_mov_b32 s5, 0
	.p2align	6
.LBB31_41:                              ; =>This Inner Loop Header: Depth=1
	global_load_b32 v12, v[1:2], off
	v_add_nc_u32_e32 v11, 0x100, v11
	v_add_co_u32 v1, vcc_lo, 0x400, v1
	v_add_co_ci_u32_e32 v2, vcc_lo, 0, v2, vcc_lo
	s_delay_alu instid0(VALU_DEP_3) | instskip(SKIP_4) | instid1(VALU_DEP_1)
	v_cmp_le_i32_e32 vcc_lo, s3, v11
	s_or_b32 s5, vcc_lo, s5
	s_waitcnt vmcnt(0)
	global_store_b32 v[3:4], v12, off
	v_add_co_u32 v3, s1, 0x400, v3
	v_add_co_ci_u32_e64 v4, s1, 0, v4, s1
	s_and_not1_b32 exec_lo, exec_lo, s5
	s_cbranch_execnz .LBB31_41
.LBB31_42:
	s_or_b32 exec_lo, exec_lo, s4
	s_waitcnt_vscnt null, 0x0
	s_barrier
	buffer_gl0_inv
.LBB31_43:
	s_lshl_b32 s4, s9, 2
	v_cmp_gt_i32_e64 s1, s9, v0
	s_add_i32 s5, s4, 0
	s_mov_b32 s6, 0
	s_add_i32 s22, s5, 4
	s_delay_alu instid0(VALU_DEP_1)
	s_and_saveexec_b32 s7, s1
	s_cbranch_execz .LBB31_49
; %bb.44:
	v_dual_mov_b32 v2, 0 :: v_dual_mov_b32 v11, v0
	s_set_inst_prefetch_distance 0x1
	s_branch .LBB31_46
	.p2align	6
.LBB31_45:                              ;   in Loop: Header=BB31_46 Depth=1
	s_or_b32 exec_lo, exec_lo, s23
	v_add_nc_u32_e32 v11, 0x100, v11
	s_delay_alu instid0(VALU_DEP_1) | instskip(SKIP_1) | instid1(SALU_CYCLE_1)
	v_cmp_le_i32_e32 vcc_lo, s9, v11
	s_or_b32 s6, vcc_lo, s6
	s_and_not1_b32 exec_lo, exec_lo, s6
	s_cbranch_execz .LBB31_49
.LBB31_46:                              ; =>This Loop Header: Depth=1
                                        ;     Child Loop BB31_48 Depth 2
	s_delay_alu instid0(VALU_DEP_1) | instskip(SKIP_1) | instid1(VALU_DEP_1)
	v_lshlrev_b32_e32 v1, 2, v11
	s_mov_b32 s23, exec_lo
	v_add_nc_u32_e32 v3, 0, v1
	v_add_nc_u32_e32 v1, s22, v1
	ds_load_2addr_b32 v[3:4], v3 offset1:1
	s_waitcnt lgkmcnt(0)
	ds_store_b32 v1, v3
	v_cmpx_lt_i32_e64 v3, v4
	s_cbranch_execz .LBB31_45
; %bb.47:                               ;   in Loop: Header=BB31_46 Depth=1
	s_mov_b32 s24, 0
	.p2align	6
.LBB31_48:                              ;   Parent Loop BB31_46 Depth=1
                                        ; =>  This Inner Loop Header: Depth=2
	v_mul_hi_u32 v1, s26, v3
	s_delay_alu instid0(VALU_DEP_1) | instskip(SKIP_1) | instid1(VALU_DEP_2)
	v_add_nc_u32_e32 v1, v3, v1
	v_add_nc_u32_e32 v3, s25, v3
	v_lshrrev_b32_e32 v1, s27, v1
	s_delay_alu instid0(VALU_DEP_2) | instskip(NEXT) | instid1(VALU_DEP_2)
	v_cmp_ge_i32_e32 vcc_lo, v3, v4
	v_lshlrev_b64 v[12:13], 2, v[1:2]
	s_or_b32 s24, vcc_lo, s24
	s_delay_alu instid0(VALU_DEP_1) | instskip(NEXT) | instid1(VALU_DEP_1)
	v_add_co_u32 v12, s3, s20, v12
	v_add_co_ci_u32_e64 v13, s3, s21, v13, s3
	global_store_b32 v[12:13], v11, off
	s_and_not1_b32 exec_lo, exec_lo, s24
	s_cbranch_execnz .LBB31_48
	s_branch .LBB31_45
.LBB31_49:
	s_set_inst_prefetch_distance 0x2
	s_or_b32 exec_lo, exec_lo, s7
	s_add_i32 s3, s5, s4
	s_delay_alu instid0(SALU_CYCLE_1)
	v_dual_mov_b32 v1, s5 :: v_dual_mov_b32 v2, s3
	s_waitcnt lgkmcnt(0)
	s_waitcnt_vscnt null, 0x0
	s_barrier
	buffer_gl0_inv
	ds_load_b32 v1, v1
	s_and_not1_b32 vcc_lo, exec_lo, s40
	s_waitcnt lgkmcnt(0)
	ds_store_b32 v2, v1 offset:4
	s_cbranch_vccnz .LBB31_69
; %bb.50:
	s_sub_i32 s5, s37, s31
	s_add_u32 s23, s16, -4
	s_addc_u32 s24, s17, -1
	s_add_u32 s25, s14, -4
	s_addc_u32 s26, s15, -1
	v_dual_mov_b32 v14, 0 :: v_dual_and_b32 v1, 8, v10
	s_add_u32 s27, s18, -4
	s_addc_u32 s31, s19, -1
	s_lshl_b32 s35, s9, 3
	s_delay_alu instid0(VALU_DEP_1)
	v_cmp_eq_u32_e64 s4, 0, v1
	v_add3_u32 v5, v5, s35, v6
	v_mad_u64_u32 v[1:2], null, v0, s10, 0
	v_mad_u64_u32 v[3:4], null, v0, s29, 0
	v_mul_lo_u32 v12, s28, v8
	s_add_i32 s14, s35, 0
	s_mov_b32 s7, 0
	v_cmp_gt_i32_e32 vcc_lo, s39, v0
	v_cmp_gt_i32_e64 s3, s33, v8
	v_or_b32_e32 v10, 28, v7
	v_add3_u32 v11, s14, v7, 8
	v_add3_u32 v13, v5, 0, 8
	s_mov_b32 s6, s10
	s_mov_b32 s20, s29
	;; [unrolled: 1-line block ×3, first 2 shown]
	s_lshl_b32 s35, s9, 5
	s_lshl_b32 s34, s5, 2
	s_lshl_b64 s[14:15], s[6:7], 8
	s_sub_i32 s10, 0, s28
	s_lshl_b64 s[20:21], s[20:21], 8
	s_lshl_b32 s29, s28, 3
	s_add_i32 s35, s35, 32
	s_mov_b32 s40, s7
	s_branch .LBB31_52
.LBB31_51:                              ;   in Loop: Header=BB31_52 Depth=1
	s_or_b32 exec_lo, exec_lo, s41
	v_add_nc_u32_e32 v12, s39, v12
	s_add_i32 s40, s40, s33
	s_add_i32 s7, s7, s39
	s_cmp_ge_i32 s40, s8
	s_waitcnt lgkmcnt(0)
	s_waitcnt_vscnt null, 0x0
	s_barrier
	buffer_gl0_inv
	s_cbranch_scc1 .LBB31_69
.LBB31_52:                              ; =>This Loop Header: Depth=1
                                        ;     Child Loop BB31_54 Depth 2
                                        ;     Child Loop BB31_58 Depth 2
	;; [unrolled: 1-line block ×3, first 2 shown]
                                        ;       Child Loop BB31_67 Depth 3
	s_and_saveexec_b32 s41, s2
	s_cbranch_execz .LBB31_55
; %bb.53:                               ;   in Loop: Header=BB31_52 Depth=1
	v_dual_mov_b32 v6, v2 :: v_dual_mov_b32 v5, v1
	v_mov_b32_e32 v7, v11
	v_mov_b32_e32 v15, v0
	s_mov_b32 s42, 0
	.p2align	6
.LBB31_54:                              ;   Parent Loop BB31_52 Depth=1
                                        ; =>  This Inner Loop Header: Depth=2
	s_delay_alu instid0(VALU_DEP_1) | instskip(SKIP_2) | instid1(VALU_DEP_1)
	v_add_nc_u32_e32 v16, v15, v6
	v_add_nc_u32_e32 v15, 0x100, v15
	v_add_co_u32 v5, s5, v5, s14
	v_add_co_ci_u32_e64 v6, s5, s15, v6, s5
	s_delay_alu instid0(VALU_DEP_4) | instskip(NEXT) | instid1(VALU_DEP_4)
	v_lshrrev_b32_e32 v18, s11, v16
	v_cmp_le_i32_e64 s6, s36, v15
	s_delay_alu instid0(VALU_DEP_2) | instskip(SKIP_1) | instid1(VALU_DEP_3)
	v_mad_u64_u32 v[16:17], null, s34, v18, v[7:8]
	v_add_nc_u32_e32 v7, 0x400, v7
	s_or_b32 s42, s6, s42
	ds_store_b32 v16, v14
	s_and_not1_b32 exec_lo, exec_lo, s42
	s_cbranch_execnz .LBB31_54
.LBB31_55:                              ;   in Loop: Header=BB31_52 Depth=1
	s_or_b32 exec_lo, exec_lo, s41
	s_waitcnt lgkmcnt(0)
	s_barrier
	buffer_gl0_inv
	s_and_saveexec_b32 s41, vcc_lo
	s_cbranch_execz .LBB31_60
; %bb.56:                               ;   in Loop: Header=BB31_52 Depth=1
	v_dual_mov_b32 v6, v4 :: v_dual_mov_b32 v5, v3
	v_mov_b32_e32 v7, v0
	s_mov_b32 s42, 0
	s_set_inst_prefetch_distance 0x1
	s_branch .LBB31_58
	.p2align	6
.LBB31_57:                              ;   in Loop: Header=BB31_58 Depth=2
	s_or_b32 exec_lo, exec_lo, s6
	v_add_nc_u32_e32 v7, 0x100, v7
	v_add_co_u32 v5, s6, v5, s20
	s_delay_alu instid0(VALU_DEP_1) | instskip(NEXT) | instid1(VALU_DEP_3)
	v_add_co_ci_u32_e64 v6, s6, s21, v6, s6
	v_cmp_le_i32_e64 s5, s39, v7
	s_delay_alu instid0(VALU_DEP_1) | instskip(NEXT) | instid1(SALU_CYCLE_1)
	s_or_b32 s42, s5, s42
	s_and_not1_b32 exec_lo, exec_lo, s42
	s_cbranch_execz .LBB31_60
.LBB31_58:                              ;   Parent Loop BB31_52 Depth=1
                                        ; =>  This Inner Loop Header: Depth=2
	s_delay_alu instid0(VALU_DEP_1) | instskip(SKIP_1) | instid1(VALU_DEP_1)
	v_add_nc_u32_e32 v15, v7, v6
	s_mov_b32 s6, exec_lo
	v_lshrrev_b32_e32 v15, s30, v15
	s_delay_alu instid0(VALU_DEP_1) | instskip(NEXT) | instid1(VALU_DEP_1)
	v_add_nc_u32_e32 v16, s40, v15
	v_cmpx_gt_i32_e64 s8, v16
	s_cbranch_execz .LBB31_57
; %bb.59:                               ;   in Loop: Header=BB31_58 Depth=2
	v_add_nc_u32_e32 v16, s7, v7
	s_delay_alu instid0(VALU_DEP_1) | instskip(NEXT) | instid1(VALU_DEP_1)
	v_ashrrev_i32_e32 v17, 31, v16
	v_lshlrev_b64 v[16:17], 2, v[16:17]
	s_delay_alu instid0(VALU_DEP_1) | instskip(NEXT) | instid1(VALU_DEP_1)
	v_add_co_u32 v16, s5, s12, v16
	v_add_co_ci_u32_e64 v17, s5, s13, v17, s5
	global_load_b32 v16, v[16:17], off
	v_mul_lo_u32 v17, v15, s37
	v_mul_lo_u32 v15, s10, v15
	s_delay_alu instid0(VALU_DEP_2) | instskip(NEXT) | instid1(VALU_DEP_2)
	v_lshlrev_b32_e32 v17, 2, v17
	v_add3_u32 v15, v7, v15, 1
	s_waitcnt vmcnt(0)
	v_lshlrev_b32_e32 v16, 2, v16
	s_delay_alu instid0(VALU_DEP_1)
	v_add3_u32 v16, s38, v16, v17
	ds_store_b32 v16, v15
	s_branch .LBB31_57
.LBB31_60:                              ;   in Loop: Header=BB31_52 Depth=1
	s_set_inst_prefetch_distance 0x2
	s_or_b32 exec_lo, exec_lo, s41
	s_waitcnt lgkmcnt(0)
	s_barrier
	buffer_gl0_inv
	s_and_saveexec_b32 s41, s0
	s_cbranch_execz .LBB31_51
; %bb.61:                               ;   in Loop: Header=BB31_52 Depth=1
	v_mov_b32_e32 v5, v13
	v_mov_b32_e32 v6, v9
	s_mov_b32 s42, 0
	s_branch .LBB31_64
.LBB31_62:                              ;   in Loop: Header=BB31_64 Depth=2
	s_or_b32 exec_lo, exec_lo, s44
.LBB31_63:                              ;   in Loop: Header=BB31_64 Depth=2
	s_delay_alu instid0(SALU_CYCLE_1)
	s_or_b32 exec_lo, exec_lo, s43
	v_add_nc_u32_e32 v6, 32, v6
	v_add_nc_u32_e32 v5, 0x80, v5
	s_waitcnt lgkmcnt(0)
	ds_store_b32 v7, v15
	v_cmp_le_i32_e64 s5, s9, v6
	s_delay_alu instid0(VALU_DEP_1) | instskip(NEXT) | instid1(SALU_CYCLE_1)
	s_or_b32 s42, s5, s42
	s_and_not1_b32 exec_lo, exec_lo, s42
	s_cbranch_execz .LBB31_51
.LBB31_64:                              ;   Parent Loop BB31_52 Depth=1
                                        ; =>  This Loop Header: Depth=2
                                        ;       Child Loop BB31_67 Depth 3
	s_delay_alu instid0(VALU_DEP_1)
	v_lshl_add_u32 v7, v6, 2, 0
	ds_load_b32 v15, v7
	s_and_saveexec_b32 s43, s3
	s_cbranch_execz .LBB31_63
; %bb.65:                               ;   in Loop: Header=BB31_64 Depth=2
	v_dual_mov_b32 v16, v5 :: v_dual_mov_b32 v17, v12
	v_mov_b32_e32 v18, v8
	s_mov_b32 s44, 0
	s_branch .LBB31_67
.LBB31_66:                              ;   in Loop: Header=BB31_67 Depth=3
	s_or_b32 exec_lo, exec_lo, s6
	ds_bpermute_b32 v19, v10, v19
	v_add_nc_u32_e32 v18, 8, v18
	v_add_nc_u32_e32 v17, s29, v17
	v_add_nc_u32_e32 v16, s35, v16
	s_delay_alu instid0(VALU_DEP_3) | instskip(NEXT) | instid1(VALU_DEP_1)
	v_cmp_le_i32_e64 s5, s33, v18
	s_or_b32 s44, s5, s44
	s_waitcnt lgkmcnt(0)
	v_add_nc_u32_e32 v15, v19, v15
	s_and_not1_b32 exec_lo, exec_lo, s44
	s_cbranch_execz .LBB31_62
.LBB31_67:                              ;   Parent Loop BB31_52 Depth=1
                                        ;     Parent Loop BB31_64 Depth=2
                                        ; =>    This Inner Loop Header: Depth=3
	ds_load_b32 v20, v16
	s_waitcnt lgkmcnt(0)
	v_cmp_ne_u32_e64 s5, 0, v20
	s_delay_alu instid0(VALU_DEP_1) | instskip(NEXT) | instid1(VALU_DEP_1)
	v_cndmask_b32_e64 v19, 0, 1, s5
	v_mov_b32_dpp v19, v19 row_shr:1 row_mask:0xf bank_mask:0xf bound_ctrl:1
	s_delay_alu instid0(VALU_DEP_1) | instskip(NEXT) | instid1(VALU_DEP_1)
	v_add_co_ci_u32_e64 v21, s6, 0, v19, s5
	v_mov_b32_dpp v21, v21 row_shr:2 row_mask:0xf bank_mask:0xf bound_ctrl:1
	s_delay_alu instid0(VALU_DEP_1) | instskip(NEXT) | instid1(VALU_DEP_1)
	v_add_co_ci_u32_e64 v19, s6, v21, v19, s5
	v_add_nc_u32_dpp v19, v19, v19 row_shr:4 row_mask:0xf bank_mask:0xf bound_ctrl:1
	s_delay_alu instid0(VALU_DEP_1) | instskip(NEXT) | instid1(VALU_DEP_1)
	v_add_nc_u32_dpp v19, v19, v19 row_shr:8 row_mask:0xf bank_mask:0xf bound_ctrl:1
	v_mov_b32_dpp v21, v19 row_share:7 row_mask:0xf bank_mask:0xf bound_ctrl:1
	s_delay_alu instid0(VALU_DEP_1) | instskip(NEXT) | instid1(VALU_DEP_1)
	v_cndmask_b32_e64 v21, v21, 0, s4
	v_sub_nc_u32_e32 v19, v19, v21
	s_and_saveexec_b32 s6, s5
	s_cbranch_execz .LBB31_66
; %bb.68:                               ;   in Loop: Header=BB31_67 Depth=3
	v_add_nc_u32_e32 v21, v17, v20
	v_add_nc_u32_e32 v23, s40, v18
	s_delay_alu instid0(VALU_DEP_2) | instskip(NEXT) | instid1(VALU_DEP_2)
	v_ashrrev_i32_e32 v22, 31, v21
	v_perm_b32 v23, v20, v23, 0x4020100
	s_delay_alu instid0(VALU_DEP_2) | instskip(NEXT) | instid1(VALU_DEP_2)
	v_lshlrev_b64 v[21:22], 2, v[21:22]
	v_add_nc_u32_e32 v25, 0xff000000, v23
	s_delay_alu instid0(VALU_DEP_2) | instskip(NEXT) | instid1(VALU_DEP_1)
	v_add_co_u32 v21, s5, s25, v21
	v_add_co_ci_u32_e64 v22, s5, s26, v22, s5
	global_load_b32 v24, v[21:22], off
	v_add_nc_u32_e32 v21, v19, v15
	s_delay_alu instid0(VALU_DEP_1) | instskip(NEXT) | instid1(VALU_DEP_1)
	v_ashrrev_i32_e32 v22, 31, v21
	v_lshlrev_b64 v[20:21], 2, v[21:22]
	s_delay_alu instid0(VALU_DEP_1) | instskip(NEXT) | instid1(VALU_DEP_1)
	v_add_co_u32 v22, s5, s23, v20
	v_add_co_ci_u32_e64 v23, s5, s24, v21, s5
	v_add_co_u32 v20, s5, s27, v20
	s_delay_alu instid0(VALU_DEP_1)
	v_add_co_ci_u32_e64 v21, s5, s31, v21, s5
	global_store_b32 v[22:23], v25, off
	s_waitcnt vmcnt(0)
	global_store_b32 v[20:21], v24, off
	s_branch .LBB31_66
.LBB31_69:
	s_and_saveexec_b32 s0, s1
	s_cbranch_execz .LBB31_75
; %bb.70:
	v_mov_b32_e32 v6, 0
	s_and_b32 s0, s8, 0xffffff
	s_lshl_b32 s1, s28, 24
	s_add_i32 s22, s22, 4
	s_or_b32 s1, s1, s0
	s_mov_b32 s2, 0
	s_set_inst_prefetch_distance 0x1
	s_branch .LBB31_72
	.p2align	6
.LBB31_71:                              ;   in Loop: Header=BB31_72 Depth=1
	s_or_b32 exec_lo, exec_lo, s3
	v_add_nc_u32_e32 v0, 0x100, v0
	s_delay_alu instid0(VALU_DEP_1) | instskip(SKIP_1) | instid1(SALU_CYCLE_1)
	v_cmp_le_i32_e32 vcc_lo, s9, v0
	s_or_b32 s2, vcc_lo, s2
	s_and_not1_b32 exec_lo, exec_lo, s2
	s_cbranch_execz .LBB31_75
.LBB31_72:                              ; =>This Loop Header: Depth=1
                                        ;     Child Loop BB31_74 Depth 2
	v_lshlrev_b32_e32 v1, 2, v0
	s_mov_b32 s3, exec_lo
	s_delay_alu instid0(VALU_DEP_1)
	v_add_nc_u32_e32 v2, 0, v1
	v_add_nc_u32_e32 v3, s22, v1
	ds_load_b32 v1, v2
	ds_load_b32 v7, v3
	s_waitcnt lgkmcnt(0)
	v_cmpx_lt_i32_e64 v1, v7
	s_cbranch_execz .LBB31_71
; %bb.73:                               ;   in Loop: Header=BB31_72 Depth=1
	v_ashrrev_i32_e32 v2, 31, v1
	s_mov_b32 s4, 0
	s_delay_alu instid0(VALU_DEP_1) | instskip(NEXT) | instid1(VALU_DEP_1)
	v_lshlrev_b64 v[4:5], 2, v[1:2]
	v_add_co_u32 v2, vcc_lo, s16, v4
	s_delay_alu instid0(VALU_DEP_2)
	v_add_co_ci_u32_e32 v3, vcc_lo, s17, v5, vcc_lo
	v_add_co_u32 v4, vcc_lo, s18, v4
	v_add_co_ci_u32_e32 v5, vcc_lo, s19, v5, vcc_lo
	.p2align	6
.LBB31_74:                              ;   Parent Loop BB31_72 Depth=1
                                        ; =>  This Inner Loop Header: Depth=2
	v_dual_mov_b32 v8, s1 :: v_dual_add_nc_u32 v1, 1, v1
	global_store_b32 v[4:5], v6, off
	v_add_co_u32 v4, vcc_lo, v4, 4
	v_add_co_ci_u32_e32 v5, vcc_lo, 0, v5, vcc_lo
	global_store_b32 v[2:3], v8, off
	v_cmp_ge_i32_e32 vcc_lo, v1, v7
	v_add_co_u32 v2, s0, v2, 4
	s_delay_alu instid0(VALU_DEP_1) | instskip(SKIP_1) | instid1(SALU_CYCLE_1)
	v_add_co_ci_u32_e64 v3, s0, 0, v3, s0
	s_or_b32 s4, vcc_lo, s4
	s_and_not1_b32 exec_lo, exec_lo, s4
	s_cbranch_execnz .LBB31_74
	s_branch .LBB31_71
.LBB31_75:
	s_set_inst_prefetch_distance 0x2
	s_nop 0
	s_sendmsg sendmsg(MSG_DEALLOC_VGPRS)
	s_endpgm
	.section	.rodata,"a",@progbits
	.p2align	6, 0x0
	.amdhsa_kernel _ZN5aiter22opus_moe_sorting_entryINS_16MoeSortingKernelINS_19MoeSortingProblemExIifLi2ELb0ELb0ELb0ELb1ELi0EEEEENS4_5KargsEEEvT0_
		.amdhsa_group_segment_fixed_size 0
		.amdhsa_private_segment_fixed_size 0
		.amdhsa_kernarg_size 400
		.amdhsa_user_sgpr_count 15
		.amdhsa_user_sgpr_dispatch_ptr 0
		.amdhsa_user_sgpr_queue_ptr 0
		.amdhsa_user_sgpr_kernarg_segment_ptr 1
		.amdhsa_user_sgpr_dispatch_id 0
		.amdhsa_user_sgpr_private_segment_size 0
		.amdhsa_wavefront_size32 1
		.amdhsa_uses_dynamic_stack 0
		.amdhsa_enable_private_segment 0
		.amdhsa_system_sgpr_workgroup_id_x 1
		.amdhsa_system_sgpr_workgroup_id_y 0
		.amdhsa_system_sgpr_workgroup_id_z 0
		.amdhsa_system_sgpr_workgroup_info 0
		.amdhsa_system_vgpr_workitem_id 0
		.amdhsa_next_free_vgpr 26
		.amdhsa_next_free_sgpr 45
		.amdhsa_reserve_vcc 1
		.amdhsa_float_round_mode_32 0
		.amdhsa_float_round_mode_16_64 0
		.amdhsa_float_denorm_mode_32 3
		.amdhsa_float_denorm_mode_16_64 3
		.amdhsa_dx10_clamp 1
		.amdhsa_ieee_mode 1
		.amdhsa_fp16_overflow 0
		.amdhsa_workgroup_processor_mode 1
		.amdhsa_memory_ordered 1
		.amdhsa_forward_progress 0
		.amdhsa_shared_vgpr_count 0
		.amdhsa_exception_fp_ieee_invalid_op 0
		.amdhsa_exception_fp_denorm_src 0
		.amdhsa_exception_fp_ieee_div_zero 0
		.amdhsa_exception_fp_ieee_overflow 0
		.amdhsa_exception_fp_ieee_underflow 0
		.amdhsa_exception_fp_ieee_inexact 0
		.amdhsa_exception_int_div_zero 0
	.end_amdhsa_kernel
	.section	.text._ZN5aiter22opus_moe_sorting_entryINS_16MoeSortingKernelINS_19MoeSortingProblemExIifLi2ELb0ELb0ELb0ELb1ELi0EEEEENS4_5KargsEEEvT0_,"axG",@progbits,_ZN5aiter22opus_moe_sorting_entryINS_16MoeSortingKernelINS_19MoeSortingProblemExIifLi2ELb0ELb0ELb0ELb1ELi0EEEEENS4_5KargsEEEvT0_,comdat
.Lfunc_end31:
	.size	_ZN5aiter22opus_moe_sorting_entryINS_16MoeSortingKernelINS_19MoeSortingProblemExIifLi2ELb0ELb0ELb0ELb1ELi0EEEEENS4_5KargsEEEvT0_, .Lfunc_end31-_ZN5aiter22opus_moe_sorting_entryINS_16MoeSortingKernelINS_19MoeSortingProblemExIifLi2ELb0ELb0ELb0ELb1ELi0EEEEENS4_5KargsEEEvT0_
                                        ; -- End function
	.section	.AMDGPU.csdata,"",@progbits
; Kernel info:
; codeLenInByte = 3492
; NumSgprs: 47
; NumVgprs: 26
; ScratchSize: 0
; MemoryBound: 0
; FloatMode: 240
; IeeeMode: 1
; LDSByteSize: 0 bytes/workgroup (compile time only)
; SGPRBlocks: 5
; VGPRBlocks: 3
; NumSGPRsForWavesPerEU: 47
; NumVGPRsForWavesPerEU: 26
; Occupancy: 16
; WaveLimiterHint : 1
; COMPUTE_PGM_RSRC2:SCRATCH_EN: 0
; COMPUTE_PGM_RSRC2:USER_SGPR: 15
; COMPUTE_PGM_RSRC2:TRAP_HANDLER: 0
; COMPUTE_PGM_RSRC2:TGID_X_EN: 1
; COMPUTE_PGM_RSRC2:TGID_Y_EN: 0
; COMPUTE_PGM_RSRC2:TGID_Z_EN: 0
; COMPUTE_PGM_RSRC2:TIDIG_COMP_CNT: 0
	.section	.text._ZN5aiter22opus_moe_sorting_entryINS_16MoeSortingKernelINS_19MoeSortingProblemExIifLi1ELb0ELb0ELb0ELb1ELi0EEEEENS4_5KargsEEEvT0_,"axG",@progbits,_ZN5aiter22opus_moe_sorting_entryINS_16MoeSortingKernelINS_19MoeSortingProblemExIifLi1ELb0ELb0ELb0ELb1ELi0EEEEENS4_5KargsEEEvT0_,comdat
	.protected	_ZN5aiter22opus_moe_sorting_entryINS_16MoeSortingKernelINS_19MoeSortingProblemExIifLi1ELb0ELb0ELb0ELb1ELi0EEEEENS4_5KargsEEEvT0_ ; -- Begin function _ZN5aiter22opus_moe_sorting_entryINS_16MoeSortingKernelINS_19MoeSortingProblemExIifLi1ELb0ELb0ELb0ELb1ELi0EEEEENS4_5KargsEEEvT0_
	.globl	_ZN5aiter22opus_moe_sorting_entryINS_16MoeSortingKernelINS_19MoeSortingProblemExIifLi1ELb0ELb0ELb0ELb1ELi0EEEEENS4_5KargsEEEvT0_
	.p2align	8
	.type	_ZN5aiter22opus_moe_sorting_entryINS_16MoeSortingKernelINS_19MoeSortingProblemExIifLi1ELb0ELb0ELb0ELb1ELi0EEEEENS4_5KargsEEEvT0_,@function
_ZN5aiter22opus_moe_sorting_entryINS_16MoeSortingKernelINS_19MoeSortingProblemExIifLi1ELb0ELb0ELb0ELb1ELi0EEEEENS4_5KargsEEEvT0_: ; @_ZN5aiter22opus_moe_sorting_entryINS_16MoeSortingKernelINS_19MoeSortingProblemExIifLi1ELb0ELb0ELb0ELb1ELi0EEEEENS4_5KargsEEEvT0_
; %bb.0:
	s_clause 0x1
	s_load_b256 s[16:23], s[0:1], 0x20
	s_load_b256 s[4:11], s[0:1], 0x40
	s_cmp_eq_u32 s15, 0
	s_cbranch_scc1 .LBB32_7
; %bb.1:
	s_waitcnt lgkmcnt(0)
	s_cmp_eq_u64 s[4:5], 0
	s_cbranch_scc1 .LBB32_6
; %bb.2:
	s_mul_i32 s2, s10, s8
	s_ashr_i32 s3, s11, 31
	s_mul_hi_u32 s12, s2, s11
	s_mul_i32 s3, s2, s3
	s_mul_hi_i32 s10, s10, s8
	s_add_i32 s3, s12, s3
	s_mul_i32 s10, s10, s11
	s_mul_i32 s2, s2, s11
	s_add_i32 s3, s3, s10
	v_mov_b32_e32 v2, 0
	s_ashr_i32 s10, s3, 31
	s_mov_b32 s13, 0
	s_lshr_b32 s10, s10, 28
	s_delay_alu instid0(SALU_CYCLE_1) | instskip(SKIP_2) | instid1(SALU_CYCLE_1)
	s_add_u32 s2, s2, s10
	s_addc_u32 s3, s3, 0
	s_lshl_b32 s10, s15, 8
	v_add3_u32 v1, v0, s10, 0xffffff00
	s_ashr_i64 s[10:11], s[2:3], 4
	s_mov_b32 s3, exec_lo
	s_delay_alu instid0(VALU_DEP_1)
	v_cmpx_gt_i64_e64 s[10:11], v[1:2]
	s_cbranch_execz .LBB32_5
; %bb.3:
	s_load_b32 s2, s[0:1], 0x90
	v_lshlrev_b64 v[3:4], 4, v[1:2]
	v_dual_mov_b32 v6, v2 :: v_dual_mov_b32 v5, v1
	v_mov_b32_e32 v1, v2
	s_delay_alu instid0(VALU_DEP_3) | instskip(NEXT) | instid1(VALU_DEP_4)
	v_add_co_u32 v7, vcc_lo, s4, v3
	v_add_co_ci_u32_e32 v8, vcc_lo, s5, v4, vcc_lo
	v_mov_b32_e32 v3, v2
	v_mov_b32_e32 v4, v2
	s_waitcnt lgkmcnt(0)
	s_lshl_b32 s2, s2, 8
	s_delay_alu instid0(SALU_CYCLE_1) | instskip(NEXT) | instid1(SALU_CYCLE_1)
	s_add_i32 s12, s2, 0xffffff00
	s_lshl_b64 s[4:5], s[12:13], 4
.LBB32_4:                               ; =>This Inner Loop Header: Depth=1
	v_add_co_u32 v5, vcc_lo, v5, s12
	v_add_co_ci_u32_e32 v6, vcc_lo, 0, v6, vcc_lo
	global_store_b128 v[7:8], v[1:4], off
	v_add_co_u32 v7, s2, v7, s4
	v_cmp_le_i64_e32 vcc_lo, s[10:11], v[5:6]
	v_add_co_ci_u32_e64 v8, s2, s5, v8, s2
	s_or_b32 s13, vcc_lo, s13
	s_delay_alu instid0(SALU_CYCLE_1)
	s_and_not1_b32 exec_lo, exec_lo, s13
	s_cbranch_execnz .LBB32_4
.LBB32_5:
	s_or_b32 exec_lo, exec_lo, s3
.LBB32_6:
	s_cbranch_execz .LBB32_8
	s_branch .LBB32_75
.LBB32_7:
.LBB32_8:
	s_load_b256 s[24:31], s[0:1], 0x64
	s_waitcnt lgkmcnt(0)
	s_load_b64 s[10:11], s[0:1], 0x84
	v_lshrrev_b32_e32 v1, 5, v0
	v_lshlrev_b32_e32 v7, 2, v0
	s_add_i32 s37, s9, 1
	s_delay_alu instid0(VALU_DEP_2) | instskip(SKIP_1) | instid1(SALU_CYCLE_1)
	v_readfirstlane_b32 s41, v1
	s_add_i32 s33, s24, -2
	s_mul_i32 s36, s33, s9
	s_delay_alu instid0(SALU_CYCLE_1) | instskip(NEXT) | instid1(VALU_DEP_1)
	v_cmp_gt_i32_e64 s2, s36, v0
	s_and_saveexec_b32 s14, s2
	s_cbranch_execz .LBB32_11
; %bb.9:
	s_lshl_b32 s3, s9, 3
	s_waitcnt lgkmcnt(0)
	v_mad_u64_u32 v[1:2], null, v0, s10, 0
	s_add_i32 s3, s3, 0
	v_dual_mov_b32 v4, 0 :: v_dual_mov_b32 v5, v0
	v_add3_u32 v3, s3, v7, 8
	s_mov_b32 s5, 0
	s_sub_i32 s12, s37, s31
	s_mov_b32 s4, s10
	s_lshl_b32 s15, s12, 2
	s_lshl_b64 s[12:13], s[4:5], 8
	.p2align	6
.LBB32_10:                              ; =>This Inner Loop Header: Depth=1
	v_add_nc_u32_e32 v6, v5, v2
	v_add_nc_u32_e32 v5, 0x100, v5
	v_add_co_u32 v1, vcc_lo, v1, s12
	v_add_co_ci_u32_e32 v2, vcc_lo, s13, v2, vcc_lo
	s_delay_alu instid0(VALU_DEP_4) | instskip(NEXT) | instid1(VALU_DEP_4)
	v_lshrrev_b32_e32 v6, s11, v6
	v_cmp_le_i32_e64 s3, s36, v5
	s_delay_alu instid0(VALU_DEP_2) | instskip(SKIP_1) | instid1(VALU_DEP_3)
	v_mad_u64_u32 v[8:9], null, s15, v6, v[3:4]
	v_add_nc_u32_e32 v3, 0x400, v3
	s_or_b32 s5, s3, s5
	ds_store_b32 v8, v4
	s_and_not1_b32 exec_lo, exec_lo, s5
	s_cbranch_execnz .LBB32_10
.LBB32_11:
	s_or_b32 exec_lo, exec_lo, s14
	s_load_b128 s[12:15], s[0:1], 0x0
	s_lshl_b32 s0, s37, 3
	s_mul_i32 s39, s28, s33
	s_add_i32 s38, s0, 0
	v_cmp_gt_i32_e32 vcc_lo, s39, v0
	s_cmp_gt_i32 s8, 0
	s_mov_b32 s5, 0
	s_cselect_b32 s40, -1, 0
	s_cmp_lt_i32 s8, 1
	s_waitcnt lgkmcnt(0)
	s_waitcnt_vscnt null, 0x0
	s_barrier
	buffer_gl0_inv
	s_cbranch_scc1 .LBB32_19
; %bb.12:
	v_mad_u64_u32 v[1:2], null, v0, s29, 0
	v_mov_b32_e32 v4, 0
	s_mov_b32 s4, s29
	s_mov_b32 s3, 0
	s_lshl_b64 s[34:35], s[4:5], 8
	s_branch .LBB32_14
.LBB32_13:                              ;   in Loop: Header=BB32_14 Depth=1
	s_set_inst_prefetch_distance 0x2
	s_or_b32 exec_lo, exec_lo, s4
	s_add_i32 s3, s3, s33
	s_add_i32 s5, s5, s39
	s_cmp_ge_i32 s3, s8
	s_waitcnt lgkmcnt(0)
	s_barrier
	buffer_gl0_inv
	s_cbranch_scc1 .LBB32_19
.LBB32_14:                              ; =>This Loop Header: Depth=1
                                        ;     Child Loop BB32_17 Depth 2
	s_and_saveexec_b32 s4, vcc_lo
	s_cbranch_execz .LBB32_13
; %bb.15:                               ;   in Loop: Header=BB32_14 Depth=1
	v_dual_mov_b32 v6, v2 :: v_dual_mov_b32 v5, v1
	v_mov_b32_e32 v8, v0
	s_mov_b32 s42, 0
	s_set_inst_prefetch_distance 0x1
	s_branch .LBB32_17
	.p2align	6
.LBB32_16:                              ;   in Loop: Header=BB32_17 Depth=2
	s_or_b32 exec_lo, exec_lo, s1
	v_add_nc_u32_e32 v8, 0x100, v8
	v_add_co_u32 v5, s1, v5, s34
	s_delay_alu instid0(VALU_DEP_1) | instskip(NEXT) | instid1(VALU_DEP_3)
	v_add_co_ci_u32_e64 v6, s1, s35, v6, s1
	v_cmp_le_i32_e64 s0, s39, v8
	s_waitcnt vmcnt(48) lgkmcnt(7)
	s_delay_alu instid0(VALU_DEP_1) | instskip(NEXT) | instid1(SALU_CYCLE_1)
	s_or_b32 s42, s0, s42
	s_and_not1_b32 exec_lo, exec_lo, s42
	s_cbranch_execz .LBB32_13
.LBB32_17:                              ;   Parent Loop BB32_14 Depth=1
                                        ; =>  This Inner Loop Header: Depth=2
	s_delay_alu instid0(VALU_DEP_1) | instskip(SKIP_1) | instid1(VALU_DEP_1)
	v_add_nc_u32_e32 v3, v8, v6
	s_mov_b32 s1, exec_lo
	v_lshrrev_b32_e32 v9, s30, v3
	s_delay_alu instid0(VALU_DEP_1) | instskip(NEXT) | instid1(VALU_DEP_1)
	v_add_nc_u32_e32 v3, s3, v9
	v_cmpx_gt_i32_e64 s8, v3
	s_cbranch_execz .LBB32_16
; %bb.18:                               ;   in Loop: Header=BB32_17 Depth=2
	v_add_nc_u32_e32 v3, s5, v8
	v_mul_lo_u32 v9, v9, s37
	s_delay_alu instid0(VALU_DEP_2) | instskip(NEXT) | instid1(VALU_DEP_2)
	v_lshlrev_b64 v[10:11], 2, v[3:4]
	v_lshlrev_b32_e32 v9, 2, v9
	s_delay_alu instid0(VALU_DEP_2) | instskip(NEXT) | instid1(VALU_DEP_1)
	v_add_co_u32 v10, s0, s12, v10
	v_add_co_ci_u32_e64 v11, s0, s13, v11, s0
	global_load_b32 v3, v[10:11], off
	s_waitcnt vmcnt(0)
	v_lshlrev_b32_e32 v3, 2, v3
	s_delay_alu instid0(VALU_DEP_1)
	v_add3_u32 v3, s38, v3, v9
	ds_load_b32 v9, v3
	s_waitcnt lgkmcnt(0)
	v_add_nc_u32_e32 v9, 1, v9
	ds_store_b32 v3, v9
	s_branch .LBB32_16
.LBB32_19:
	s_mov_b32 s0, exec_lo
	v_cmpx_eq_u32_e32 0, v0
	s_cbranch_execz .LBB32_21
; %bb.20:
	v_mov_b32_e32 v1, 0
	ds_store_b32 v1, v1
.LBB32_21:
	s_or_b32 exec_lo, exec_lo, s0
	v_and_b32_e32 v8, 7, v0
	v_lshrrev_b32_e32 v9, 3, v0
	v_mbcnt_lo_u32_b32 v10, -1, 0
	s_mov_b32 s4, 0
	s_delay_alu instid0(VALU_DEP_3) | instskip(NEXT) | instid1(VALU_DEP_3)
	v_mul_lo_u32 v1, s37, v8
	v_cmp_gt_i32_e64 s0, s9, v9
	v_lshlrev_b32_e32 v6, 2, v9
	s_delay_alu instid0(VALU_DEP_3) | instskip(NEXT) | instid1(VALU_DEP_3)
	v_lshlrev_b32_e32 v5, 2, v1
	s_and_saveexec_b32 s3, s0
	s_cbranch_execz .LBB32_29
; %bb.22:
	s_cmp_gt_i32 s24, 2
	v_lshlrev_b32_e32 v3, 2, v10
	s_cselect_b32 s5, -1, 0
	s_lshl_b32 s1, s9, 3
	v_mov_b32_e32 v11, v9
	v_add3_u32 v4, v5, s1, v6
	v_cmp_eq_u32_e64 s1, 0, v8
	v_xor_b32_e32 v1, 4, v3
	v_xor_b32_e32 v2, 8, v3
	;; [unrolled: 1-line block ×3, first 2 shown]
	v_add3_u32 v4, v4, 0, 8
	s_lshl_b32 s24, s9, 5
	s_delay_alu instid0(SALU_CYCLE_1)
	s_add_i32 s24, s24, 32
	s_set_inst_prefetch_distance 0x1
	s_branch .LBB32_24
	.p2align	6
.LBB32_23:                              ;   in Loop: Header=BB32_24 Depth=1
	s_or_b32 exec_lo, exec_lo, s34
	v_add_nc_u32_e32 v11, 32, v11
	v_add_nc_u32_e32 v4, 0x80, v4
	s_delay_alu instid0(VALU_DEP_2) | instskip(SKIP_1) | instid1(SALU_CYCLE_1)
	v_cmp_le_i32_e32 vcc_lo, s9, v11
	s_or_b32 s4, vcc_lo, s4
	s_and_not1_b32 exec_lo, exec_lo, s4
	s_cbranch_execz .LBB32_29
.LBB32_24:                              ; =>This Loop Header: Depth=1
                                        ;     Child Loop BB32_26 Depth 2
	v_mov_b32_e32 v12, 0
	s_and_not1_b32 vcc_lo, exec_lo, s5
	s_cbranch_vccnz .LBB32_27
; %bb.25:                               ;   in Loop: Header=BB32_24 Depth=1
	v_dual_mov_b32 v12, 0 :: v_dual_mov_b32 v13, v4
	s_mov_b32 s34, 0
.LBB32_26:                              ;   Parent Loop BB32_24 Depth=1
                                        ; =>  This Inner Loop Header: Depth=2
	ds_load_b32 v14, v13
	v_add_nc_u32_e32 v13, s24, v13
	s_add_i32 s34, s34, 8
	s_delay_alu instid0(SALU_CYCLE_1)
	s_cmp_ge_i32 s34, s33
	s_waitcnt lgkmcnt(0)
	ds_bpermute_b32 v15, v1, v14
	s_waitcnt lgkmcnt(0)
	v_add_nc_u32_e32 v14, v15, v14
	ds_bpermute_b32 v15, v2, v14
	s_waitcnt lgkmcnt(0)
	v_add_nc_u32_e32 v14, v15, v14
	ds_bpermute_b32 v15, v3, v14
	s_waitcnt lgkmcnt(0)
	v_add3_u32 v12, v14, v12, v15
	s_cbranch_scc0 .LBB32_26
.LBB32_27:                              ;   in Loop: Header=BB32_24 Depth=1
	s_and_saveexec_b32 s34, s1
	s_cbranch_execz .LBB32_23
; %bb.28:                               ;   in Loop: Header=BB32_24 Depth=1
	v_lshl_add_u32 v13, v11, 2, 0
	ds_store_b32 v13, v12 offset:4
	s_branch .LBB32_23
.LBB32_29:
	s_set_inst_prefetch_distance 0x2
	s_or_b32 exec_lo, exec_lo, s3
	s_cmp_lg_u32 s41, 0
	s_mov_b32 s4, 0
	s_waitcnt lgkmcnt(0)
	s_barrier
	buffer_gl0_inv
	s_cbranch_scc1 .LBB32_38
; %bb.30:
	v_mov_b32_e32 v1, 0
	s_cmp_lt_i32 s9, 1
	s_cbranch_scc1 .LBB32_35
; %bb.31:
	v_lshlrev_b32_e32 v1, 2, v10
	v_cmp_eq_u32_e32 vcc_lo, 0, v10
	v_cmp_lt_u32_e64 s1, 15, v10
	s_add_i32 s5, s25, -1
	s_delay_alu instid0(VALU_DEP_3) | instskip(SKIP_1) | instid1(VALU_DEP_2)
	v_and_b32_e32 v2, 64, v1
	v_add3_u32 v3, v1, 0, 4
	v_add_nc_u32_e32 v2, -4, v2
	s_set_inst_prefetch_distance 0x1
	s_branch .LBB32_33
	.p2align	6
.LBB32_32:                              ;   in Loop: Header=BB32_33 Depth=1
	s_or_b32 exec_lo, exec_lo, s24
	v_add_nc_u32_e32 v3, 0x80, v3
	s_add_i32 s4, s4, 32
	s_waitcnt vmcnt(48) lgkmcnt(7)
	s_cmp_lt_i32 s4, s9
	s_cbranch_scc0 .LBB32_35
.LBB32_33:                              ; =>This Inner Loop Header: Depth=1
	ds_load_b32 v1, v3
	v_cndmask_b32_e64 v4, 0, s4, vcc_lo
	s_mov_b32 s24, exec_lo
	s_delay_alu instid0(VALU_DEP_1) | instskip(SKIP_4) | instid1(VALU_DEP_1)
	v_lshl_add_u32 v4, v4, 2, 0
	s_waitcnt lgkmcnt(0)
	v_add_nc_u32_e32 v11, s5, v1
	ds_load_b32 v1, v4
	v_mul_hi_u32 v4, v11, s26
	v_add_nc_u32_e32 v4, v11, v4
	s_delay_alu instid0(VALU_DEP_1) | instskip(SKIP_1) | instid1(VALU_DEP_1)
	v_lshrrev_b32_e32 v4, s27, v4
	s_waitcnt lgkmcnt(0)
	v_mad_u64_u32 v[11:12], null, v4, s25, v[1:2]
	s_delay_alu instid0(VALU_DEP_1) | instskip(SKIP_1) | instid1(VALU_DEP_2)
	v_add_nc_u32_dpp v1, v11, v11 row_shr:1 row_mask:0xf bank_mask:0xf bound_ctrl:1
	v_add_nc_u32_e32 v11, s4, v10
	v_add_nc_u32_dpp v1, v1, v1 row_shr:2 row_mask:0xf bank_mask:0xf bound_ctrl:1
	s_delay_alu instid0(VALU_DEP_1) | instskip(NEXT) | instid1(VALU_DEP_1)
	v_add_nc_u32_dpp v1, v1, v1 row_shr:4 row_mask:0xf bank_mask:0xf bound_ctrl:1
	v_add_nc_u32_dpp v1, v1, v1 row_shr:8 row_mask:0xf bank_mask:0xf bound_ctrl:1
	ds_bpermute_b32 v4, v2, v1
	s_waitcnt lgkmcnt(0)
	v_cndmask_b32_e64 v4, 0, v4, s1
	s_delay_alu instid0(VALU_DEP_1)
	v_add_nc_u32_e32 v1, v1, v4
	v_cmpx_gt_i32_e64 s9, v11
	s_cbranch_execz .LBB32_32
; %bb.34:                               ;   in Loop: Header=BB32_33 Depth=1
	ds_store_b32 v3, v1
	s_branch .LBB32_32
.LBB32_35:
	s_set_inst_prefetch_distance 0x2
	v_add3_u32 v2, v10, s4, 0xffffffe1
	s_mov_b32 s1, exec_lo
	s_delay_alu instid0(VALU_DEP_1)
	v_cmpx_eq_u32_e64 s9, v2
	s_cbranch_execz .LBB32_37
; %bb.36:
	v_dual_mov_b32 v3, 0 :: v_dual_mov_b32 v2, s8
	global_store_b64 v3, v[1:2], s[22:23]
.LBB32_37:
	s_or_b32 exec_lo, exec_lo, s1
.LBB32_38:
	s_cmp_eq_u64 s[6:7], 0
	s_waitcnt lgkmcnt(0)
	s_waitcnt_vscnt null, 0x0
	s_barrier
	buffer_gl0_inv
	s_cbranch_scc1 .LBB32_43
; %bb.39:
	s_mul_i32 s3, s28, s8
	s_mov_b32 s4, exec_lo
	v_cmpx_gt_i32_e64 s3, v0
	s_cbranch_execz .LBB32_42
; %bb.40:
	v_add_co_u32 v1, s1, s12, v7
	s_delay_alu instid0(VALU_DEP_1) | instskip(SKIP_1) | instid1(VALU_DEP_1)
	v_add_co_ci_u32_e64 v2, null, s13, 0, s1
	v_add_co_u32 v3, s1, s6, v7
	v_add_co_ci_u32_e64 v4, null, s7, 0, s1
	v_mov_b32_e32 v11, v0
	s_mov_b32 s5, 0
	.p2align	6
.LBB32_41:                              ; =>This Inner Loop Header: Depth=1
	global_load_b32 v12, v[1:2], off
	v_add_nc_u32_e32 v11, 0x100, v11
	v_add_co_u32 v1, vcc_lo, 0x400, v1
	v_add_co_ci_u32_e32 v2, vcc_lo, 0, v2, vcc_lo
	s_delay_alu instid0(VALU_DEP_3) | instskip(SKIP_4) | instid1(VALU_DEP_1)
	v_cmp_le_i32_e32 vcc_lo, s3, v11
	s_or_b32 s5, vcc_lo, s5
	s_waitcnt vmcnt(0)
	global_store_b32 v[3:4], v12, off
	v_add_co_u32 v3, s1, 0x400, v3
	v_add_co_ci_u32_e64 v4, s1, 0, v4, s1
	s_and_not1_b32 exec_lo, exec_lo, s5
	s_cbranch_execnz .LBB32_41
.LBB32_42:
	s_or_b32 exec_lo, exec_lo, s4
	s_waitcnt_vscnt null, 0x0
	s_barrier
	buffer_gl0_inv
.LBB32_43:
	s_lshl_b32 s4, s9, 2
	v_cmp_gt_i32_e64 s1, s9, v0
	s_add_i32 s5, s4, 0
	s_mov_b32 s6, 0
	s_add_i32 s22, s5, 4
	s_delay_alu instid0(VALU_DEP_1)
	s_and_saveexec_b32 s7, s1
	s_cbranch_execz .LBB32_49
; %bb.44:
	v_dual_mov_b32 v2, 0 :: v_dual_mov_b32 v11, v0
	s_set_inst_prefetch_distance 0x1
	s_branch .LBB32_46
	.p2align	6
.LBB32_45:                              ;   in Loop: Header=BB32_46 Depth=1
	s_or_b32 exec_lo, exec_lo, s23
	v_add_nc_u32_e32 v11, 0x100, v11
	s_delay_alu instid0(VALU_DEP_1) | instskip(SKIP_1) | instid1(SALU_CYCLE_1)
	v_cmp_le_i32_e32 vcc_lo, s9, v11
	s_or_b32 s6, vcc_lo, s6
	s_and_not1_b32 exec_lo, exec_lo, s6
	s_cbranch_execz .LBB32_49
.LBB32_46:                              ; =>This Loop Header: Depth=1
                                        ;     Child Loop BB32_48 Depth 2
	s_delay_alu instid0(VALU_DEP_1) | instskip(SKIP_1) | instid1(VALU_DEP_1)
	v_lshlrev_b32_e32 v1, 2, v11
	s_mov_b32 s23, exec_lo
	v_add_nc_u32_e32 v3, 0, v1
	v_add_nc_u32_e32 v1, s22, v1
	ds_load_2addr_b32 v[3:4], v3 offset1:1
	s_waitcnt lgkmcnt(0)
	ds_store_b32 v1, v3
	v_cmpx_lt_i32_e64 v3, v4
	s_cbranch_execz .LBB32_45
; %bb.47:                               ;   in Loop: Header=BB32_46 Depth=1
	s_mov_b32 s24, 0
	.p2align	6
.LBB32_48:                              ;   Parent Loop BB32_46 Depth=1
                                        ; =>  This Inner Loop Header: Depth=2
	v_mul_hi_u32 v1, s26, v3
	s_delay_alu instid0(VALU_DEP_1) | instskip(SKIP_1) | instid1(VALU_DEP_2)
	v_add_nc_u32_e32 v1, v3, v1
	v_add_nc_u32_e32 v3, s25, v3
	v_lshrrev_b32_e32 v1, s27, v1
	s_delay_alu instid0(VALU_DEP_2) | instskip(NEXT) | instid1(VALU_DEP_2)
	v_cmp_ge_i32_e32 vcc_lo, v3, v4
	v_lshlrev_b64 v[12:13], 2, v[1:2]
	s_or_b32 s24, vcc_lo, s24
	s_delay_alu instid0(VALU_DEP_1) | instskip(NEXT) | instid1(VALU_DEP_1)
	v_add_co_u32 v12, s3, s20, v12
	v_add_co_ci_u32_e64 v13, s3, s21, v13, s3
	global_store_b32 v[12:13], v11, off
	s_and_not1_b32 exec_lo, exec_lo, s24
	s_cbranch_execnz .LBB32_48
	s_branch .LBB32_45
.LBB32_49:
	s_set_inst_prefetch_distance 0x2
	s_or_b32 exec_lo, exec_lo, s7
	s_add_i32 s3, s5, s4
	s_delay_alu instid0(SALU_CYCLE_1)
	v_dual_mov_b32 v1, s5 :: v_dual_mov_b32 v2, s3
	s_waitcnt lgkmcnt(0)
	s_waitcnt_vscnt null, 0x0
	s_barrier
	buffer_gl0_inv
	ds_load_b32 v1, v1
	s_and_not1_b32 vcc_lo, exec_lo, s40
	s_waitcnt lgkmcnt(0)
	ds_store_b32 v2, v1 offset:4
	s_cbranch_vccnz .LBB32_69
; %bb.50:
	s_sub_i32 s5, s37, s31
	s_add_u32 s23, s16, -4
	s_addc_u32 s24, s17, -1
	s_add_u32 s25, s14, -4
	s_addc_u32 s26, s15, -1
	v_dual_mov_b32 v14, 0 :: v_dual_and_b32 v1, 8, v10
	s_add_u32 s27, s18, -4
	s_addc_u32 s31, s19, -1
	s_lshl_b32 s35, s9, 3
	s_delay_alu instid0(VALU_DEP_1)
	v_cmp_eq_u32_e64 s4, 0, v1
	v_add3_u32 v5, v5, s35, v6
	v_mad_u64_u32 v[1:2], null, v0, s10, 0
	v_mad_u64_u32 v[3:4], null, v0, s29, 0
	v_mul_lo_u32 v12, s28, v8
	s_add_i32 s14, s35, 0
	s_mov_b32 s7, 0
	v_cmp_gt_i32_e32 vcc_lo, s39, v0
	v_cmp_gt_i32_e64 s3, s33, v8
	v_or_b32_e32 v10, 28, v7
	v_add3_u32 v11, s14, v7, 8
	v_add3_u32 v13, v5, 0, 8
	s_mov_b32 s6, s10
	s_mov_b32 s20, s29
	;; [unrolled: 1-line block ×3, first 2 shown]
	s_lshl_b32 s35, s9, 5
	s_lshl_b32 s34, s5, 2
	s_lshl_b64 s[14:15], s[6:7], 8
	s_sub_i32 s10, 0, s28
	s_lshl_b64 s[20:21], s[20:21], 8
	s_lshl_b32 s29, s28, 3
	s_add_i32 s35, s35, 32
	s_mov_b32 s40, s7
	s_branch .LBB32_52
.LBB32_51:                              ;   in Loop: Header=BB32_52 Depth=1
	s_or_b32 exec_lo, exec_lo, s41
	v_add_nc_u32_e32 v12, s39, v12
	s_add_i32 s40, s40, s33
	s_add_i32 s7, s7, s39
	s_cmp_ge_i32 s40, s8
	s_waitcnt lgkmcnt(0)
	s_waitcnt_vscnt null, 0x0
	s_barrier
	buffer_gl0_inv
	s_cbranch_scc1 .LBB32_69
.LBB32_52:                              ; =>This Loop Header: Depth=1
                                        ;     Child Loop BB32_54 Depth 2
                                        ;     Child Loop BB32_58 Depth 2
	;; [unrolled: 1-line block ×3, first 2 shown]
                                        ;       Child Loop BB32_67 Depth 3
	s_and_saveexec_b32 s41, s2
	s_cbranch_execz .LBB32_55
; %bb.53:                               ;   in Loop: Header=BB32_52 Depth=1
	v_dual_mov_b32 v6, v2 :: v_dual_mov_b32 v5, v1
	v_mov_b32_e32 v7, v11
	v_mov_b32_e32 v15, v0
	s_mov_b32 s42, 0
	.p2align	6
.LBB32_54:                              ;   Parent Loop BB32_52 Depth=1
                                        ; =>  This Inner Loop Header: Depth=2
	s_delay_alu instid0(VALU_DEP_1) | instskip(SKIP_2) | instid1(VALU_DEP_1)
	v_add_nc_u32_e32 v16, v15, v6
	v_add_nc_u32_e32 v15, 0x100, v15
	v_add_co_u32 v5, s5, v5, s14
	v_add_co_ci_u32_e64 v6, s5, s15, v6, s5
	s_delay_alu instid0(VALU_DEP_4) | instskip(NEXT) | instid1(VALU_DEP_4)
	v_lshrrev_b32_e32 v18, s11, v16
	v_cmp_le_i32_e64 s6, s36, v15
	s_delay_alu instid0(VALU_DEP_2) | instskip(SKIP_1) | instid1(VALU_DEP_3)
	v_mad_u64_u32 v[16:17], null, s34, v18, v[7:8]
	v_add_nc_u32_e32 v7, 0x400, v7
	s_or_b32 s42, s6, s42
	ds_store_b32 v16, v14
	s_and_not1_b32 exec_lo, exec_lo, s42
	s_cbranch_execnz .LBB32_54
.LBB32_55:                              ;   in Loop: Header=BB32_52 Depth=1
	s_or_b32 exec_lo, exec_lo, s41
	s_waitcnt lgkmcnt(0)
	s_barrier
	buffer_gl0_inv
	s_and_saveexec_b32 s41, vcc_lo
	s_cbranch_execz .LBB32_60
; %bb.56:                               ;   in Loop: Header=BB32_52 Depth=1
	v_dual_mov_b32 v6, v4 :: v_dual_mov_b32 v5, v3
	v_mov_b32_e32 v7, v0
	s_mov_b32 s42, 0
	s_set_inst_prefetch_distance 0x1
	s_branch .LBB32_58
	.p2align	6
.LBB32_57:                              ;   in Loop: Header=BB32_58 Depth=2
	s_or_b32 exec_lo, exec_lo, s6
	v_add_nc_u32_e32 v7, 0x100, v7
	v_add_co_u32 v5, s6, v5, s20
	s_delay_alu instid0(VALU_DEP_1) | instskip(NEXT) | instid1(VALU_DEP_3)
	v_add_co_ci_u32_e64 v6, s6, s21, v6, s6
	v_cmp_le_i32_e64 s5, s39, v7
	s_delay_alu instid0(VALU_DEP_1) | instskip(NEXT) | instid1(SALU_CYCLE_1)
	s_or_b32 s42, s5, s42
	s_and_not1_b32 exec_lo, exec_lo, s42
	s_cbranch_execz .LBB32_60
.LBB32_58:                              ;   Parent Loop BB32_52 Depth=1
                                        ; =>  This Inner Loop Header: Depth=2
	s_delay_alu instid0(VALU_DEP_1) | instskip(SKIP_1) | instid1(VALU_DEP_1)
	v_add_nc_u32_e32 v15, v7, v6
	s_mov_b32 s6, exec_lo
	v_lshrrev_b32_e32 v15, s30, v15
	s_delay_alu instid0(VALU_DEP_1) | instskip(NEXT) | instid1(VALU_DEP_1)
	v_add_nc_u32_e32 v16, s40, v15
	v_cmpx_gt_i32_e64 s8, v16
	s_cbranch_execz .LBB32_57
; %bb.59:                               ;   in Loop: Header=BB32_58 Depth=2
	v_add_nc_u32_e32 v16, s7, v7
	s_delay_alu instid0(VALU_DEP_1) | instskip(NEXT) | instid1(VALU_DEP_1)
	v_ashrrev_i32_e32 v17, 31, v16
	v_lshlrev_b64 v[16:17], 2, v[16:17]
	s_delay_alu instid0(VALU_DEP_1) | instskip(NEXT) | instid1(VALU_DEP_1)
	v_add_co_u32 v16, s5, s12, v16
	v_add_co_ci_u32_e64 v17, s5, s13, v17, s5
	global_load_b32 v16, v[16:17], off
	v_mul_lo_u32 v17, v15, s37
	v_mul_lo_u32 v15, s10, v15
	s_delay_alu instid0(VALU_DEP_2) | instskip(NEXT) | instid1(VALU_DEP_2)
	v_lshlrev_b32_e32 v17, 2, v17
	v_add3_u32 v15, v7, v15, 1
	s_waitcnt vmcnt(0)
	v_lshlrev_b32_e32 v16, 2, v16
	s_delay_alu instid0(VALU_DEP_1)
	v_add3_u32 v16, s38, v16, v17
	ds_store_b32 v16, v15
	s_branch .LBB32_57
.LBB32_60:                              ;   in Loop: Header=BB32_52 Depth=1
	s_set_inst_prefetch_distance 0x2
	s_or_b32 exec_lo, exec_lo, s41
	s_waitcnt lgkmcnt(0)
	s_barrier
	buffer_gl0_inv
	s_and_saveexec_b32 s41, s0
	s_cbranch_execz .LBB32_51
; %bb.61:                               ;   in Loop: Header=BB32_52 Depth=1
	v_mov_b32_e32 v5, v13
	v_mov_b32_e32 v6, v9
	s_mov_b32 s42, 0
	s_branch .LBB32_64
.LBB32_62:                              ;   in Loop: Header=BB32_64 Depth=2
	s_or_b32 exec_lo, exec_lo, s44
.LBB32_63:                              ;   in Loop: Header=BB32_64 Depth=2
	s_delay_alu instid0(SALU_CYCLE_1)
	s_or_b32 exec_lo, exec_lo, s43
	v_add_nc_u32_e32 v6, 32, v6
	v_add_nc_u32_e32 v5, 0x80, v5
	s_waitcnt lgkmcnt(0)
	ds_store_b32 v7, v15
	v_cmp_le_i32_e64 s5, s9, v6
	s_delay_alu instid0(VALU_DEP_1) | instskip(NEXT) | instid1(SALU_CYCLE_1)
	s_or_b32 s42, s5, s42
	s_and_not1_b32 exec_lo, exec_lo, s42
	s_cbranch_execz .LBB32_51
.LBB32_64:                              ;   Parent Loop BB32_52 Depth=1
                                        ; =>  This Loop Header: Depth=2
                                        ;       Child Loop BB32_67 Depth 3
	s_delay_alu instid0(VALU_DEP_1)
	v_lshl_add_u32 v7, v6, 2, 0
	ds_load_b32 v15, v7
	s_and_saveexec_b32 s43, s3
	s_cbranch_execz .LBB32_63
; %bb.65:                               ;   in Loop: Header=BB32_64 Depth=2
	v_dual_mov_b32 v16, v5 :: v_dual_mov_b32 v17, v12
	v_mov_b32_e32 v18, v8
	s_mov_b32 s44, 0
	s_branch .LBB32_67
.LBB32_66:                              ;   in Loop: Header=BB32_67 Depth=3
	s_or_b32 exec_lo, exec_lo, s6
	ds_bpermute_b32 v19, v10, v19
	v_add_nc_u32_e32 v18, 8, v18
	v_add_nc_u32_e32 v17, s29, v17
	;; [unrolled: 1-line block ×3, first 2 shown]
	s_delay_alu instid0(VALU_DEP_3) | instskip(NEXT) | instid1(VALU_DEP_1)
	v_cmp_le_i32_e64 s5, s33, v18
	s_or_b32 s44, s5, s44
	s_waitcnt lgkmcnt(0)
	v_add_nc_u32_e32 v15, v19, v15
	s_and_not1_b32 exec_lo, exec_lo, s44
	s_cbranch_execz .LBB32_62
.LBB32_67:                              ;   Parent Loop BB32_52 Depth=1
                                        ;     Parent Loop BB32_64 Depth=2
                                        ; =>    This Inner Loop Header: Depth=3
	ds_load_b32 v20, v16
	s_waitcnt lgkmcnt(0)
	v_cmp_ne_u32_e64 s5, 0, v20
	s_delay_alu instid0(VALU_DEP_1) | instskip(NEXT) | instid1(VALU_DEP_1)
	v_cndmask_b32_e64 v19, 0, 1, s5
	v_mov_b32_dpp v19, v19 row_shr:1 row_mask:0xf bank_mask:0xf bound_ctrl:1
	s_delay_alu instid0(VALU_DEP_1) | instskip(NEXT) | instid1(VALU_DEP_1)
	v_add_co_ci_u32_e64 v21, s6, 0, v19, s5
	v_mov_b32_dpp v21, v21 row_shr:2 row_mask:0xf bank_mask:0xf bound_ctrl:1
	s_delay_alu instid0(VALU_DEP_1) | instskip(NEXT) | instid1(VALU_DEP_1)
	v_add_co_ci_u32_e64 v19, s6, v21, v19, s5
	v_add_nc_u32_dpp v19, v19, v19 row_shr:4 row_mask:0xf bank_mask:0xf bound_ctrl:1
	s_delay_alu instid0(VALU_DEP_1) | instskip(NEXT) | instid1(VALU_DEP_1)
	v_add_nc_u32_dpp v19, v19, v19 row_shr:8 row_mask:0xf bank_mask:0xf bound_ctrl:1
	v_mov_b32_dpp v21, v19 row_share:7 row_mask:0xf bank_mask:0xf bound_ctrl:1
	s_delay_alu instid0(VALU_DEP_1) | instskip(NEXT) | instid1(VALU_DEP_1)
	v_cndmask_b32_e64 v21, v21, 0, s4
	v_sub_nc_u32_e32 v19, v19, v21
	s_and_saveexec_b32 s6, s5
	s_cbranch_execz .LBB32_66
; %bb.68:                               ;   in Loop: Header=BB32_67 Depth=3
	v_add_nc_u32_e32 v21, v17, v20
	v_add_nc_u32_e32 v23, s40, v18
	s_delay_alu instid0(VALU_DEP_2) | instskip(NEXT) | instid1(VALU_DEP_2)
	v_ashrrev_i32_e32 v22, 31, v21
	v_perm_b32 v23, v20, v23, 0x4020100
	s_delay_alu instid0(VALU_DEP_2) | instskip(NEXT) | instid1(VALU_DEP_2)
	v_lshlrev_b64 v[21:22], 2, v[21:22]
	v_add_nc_u32_e32 v25, 0xff000000, v23
	s_delay_alu instid0(VALU_DEP_2) | instskip(NEXT) | instid1(VALU_DEP_1)
	v_add_co_u32 v21, s5, s25, v21
	v_add_co_ci_u32_e64 v22, s5, s26, v22, s5
	global_load_b32 v24, v[21:22], off
	v_add_nc_u32_e32 v21, v19, v15
	s_delay_alu instid0(VALU_DEP_1) | instskip(NEXT) | instid1(VALU_DEP_1)
	v_ashrrev_i32_e32 v22, 31, v21
	v_lshlrev_b64 v[20:21], 2, v[21:22]
	s_delay_alu instid0(VALU_DEP_1) | instskip(NEXT) | instid1(VALU_DEP_1)
	v_add_co_u32 v22, s5, s23, v20
	v_add_co_ci_u32_e64 v23, s5, s24, v21, s5
	v_add_co_u32 v20, s5, s27, v20
	s_delay_alu instid0(VALU_DEP_1)
	v_add_co_ci_u32_e64 v21, s5, s31, v21, s5
	global_store_b32 v[22:23], v25, off
	s_waitcnt vmcnt(0)
	global_store_b32 v[20:21], v24, off
	s_branch .LBB32_66
.LBB32_69:
	s_and_saveexec_b32 s0, s1
	s_cbranch_execz .LBB32_75
; %bb.70:
	v_mov_b32_e32 v6, 0
	s_and_b32 s0, s8, 0xffffff
	s_lshl_b32 s1, s28, 24
	s_add_i32 s22, s22, 4
	s_or_b32 s1, s1, s0
	s_mov_b32 s2, 0
	s_set_inst_prefetch_distance 0x1
	s_branch .LBB32_72
	.p2align	6
.LBB32_71:                              ;   in Loop: Header=BB32_72 Depth=1
	s_or_b32 exec_lo, exec_lo, s3
	v_add_nc_u32_e32 v0, 0x100, v0
	s_delay_alu instid0(VALU_DEP_1) | instskip(SKIP_1) | instid1(SALU_CYCLE_1)
	v_cmp_le_i32_e32 vcc_lo, s9, v0
	s_or_b32 s2, vcc_lo, s2
	s_and_not1_b32 exec_lo, exec_lo, s2
	s_cbranch_execz .LBB32_75
.LBB32_72:                              ; =>This Loop Header: Depth=1
                                        ;     Child Loop BB32_74 Depth 2
	v_lshlrev_b32_e32 v1, 2, v0
	s_mov_b32 s3, exec_lo
	s_delay_alu instid0(VALU_DEP_1)
	v_add_nc_u32_e32 v2, 0, v1
	v_add_nc_u32_e32 v3, s22, v1
	ds_load_b32 v1, v2
	ds_load_b32 v7, v3
	s_waitcnt lgkmcnt(0)
	v_cmpx_lt_i32_e64 v1, v7
	s_cbranch_execz .LBB32_71
; %bb.73:                               ;   in Loop: Header=BB32_72 Depth=1
	v_ashrrev_i32_e32 v2, 31, v1
	s_mov_b32 s4, 0
	s_delay_alu instid0(VALU_DEP_1) | instskip(NEXT) | instid1(VALU_DEP_1)
	v_lshlrev_b64 v[4:5], 2, v[1:2]
	v_add_co_u32 v2, vcc_lo, s16, v4
	s_delay_alu instid0(VALU_DEP_2)
	v_add_co_ci_u32_e32 v3, vcc_lo, s17, v5, vcc_lo
	v_add_co_u32 v4, vcc_lo, s18, v4
	v_add_co_ci_u32_e32 v5, vcc_lo, s19, v5, vcc_lo
	.p2align	6
.LBB32_74:                              ;   Parent Loop BB32_72 Depth=1
                                        ; =>  This Inner Loop Header: Depth=2
	v_dual_mov_b32 v8, s1 :: v_dual_add_nc_u32 v1, 1, v1
	global_store_b32 v[4:5], v6, off
	v_add_co_u32 v4, vcc_lo, v4, 4
	v_add_co_ci_u32_e32 v5, vcc_lo, 0, v5, vcc_lo
	global_store_b32 v[2:3], v8, off
	v_cmp_ge_i32_e32 vcc_lo, v1, v7
	v_add_co_u32 v2, s0, v2, 4
	s_delay_alu instid0(VALU_DEP_1) | instskip(SKIP_1) | instid1(SALU_CYCLE_1)
	v_add_co_ci_u32_e64 v3, s0, 0, v3, s0
	s_or_b32 s4, vcc_lo, s4
	s_and_not1_b32 exec_lo, exec_lo, s4
	s_cbranch_execnz .LBB32_74
	s_branch .LBB32_71
.LBB32_75:
	s_set_inst_prefetch_distance 0x2
	s_nop 0
	s_sendmsg sendmsg(MSG_DEALLOC_VGPRS)
	s_endpgm
	.section	.rodata,"a",@progbits
	.p2align	6, 0x0
	.amdhsa_kernel _ZN5aiter22opus_moe_sorting_entryINS_16MoeSortingKernelINS_19MoeSortingProblemExIifLi1ELb0ELb0ELb0ELb1ELi0EEEEENS4_5KargsEEEvT0_
		.amdhsa_group_segment_fixed_size 0
		.amdhsa_private_segment_fixed_size 0
		.amdhsa_kernarg_size 400
		.amdhsa_user_sgpr_count 15
		.amdhsa_user_sgpr_dispatch_ptr 0
		.amdhsa_user_sgpr_queue_ptr 0
		.amdhsa_user_sgpr_kernarg_segment_ptr 1
		.amdhsa_user_sgpr_dispatch_id 0
		.amdhsa_user_sgpr_private_segment_size 0
		.amdhsa_wavefront_size32 1
		.amdhsa_uses_dynamic_stack 0
		.amdhsa_enable_private_segment 0
		.amdhsa_system_sgpr_workgroup_id_x 1
		.amdhsa_system_sgpr_workgroup_id_y 0
		.amdhsa_system_sgpr_workgroup_id_z 0
		.amdhsa_system_sgpr_workgroup_info 0
		.amdhsa_system_vgpr_workitem_id 0
		.amdhsa_next_free_vgpr 26
		.amdhsa_next_free_sgpr 45
		.amdhsa_reserve_vcc 1
		.amdhsa_float_round_mode_32 0
		.amdhsa_float_round_mode_16_64 0
		.amdhsa_float_denorm_mode_32 3
		.amdhsa_float_denorm_mode_16_64 3
		.amdhsa_dx10_clamp 1
		.amdhsa_ieee_mode 1
		.amdhsa_fp16_overflow 0
		.amdhsa_workgroup_processor_mode 1
		.amdhsa_memory_ordered 1
		.amdhsa_forward_progress 0
		.amdhsa_shared_vgpr_count 0
		.amdhsa_exception_fp_ieee_invalid_op 0
		.amdhsa_exception_fp_denorm_src 0
		.amdhsa_exception_fp_ieee_div_zero 0
		.amdhsa_exception_fp_ieee_overflow 0
		.amdhsa_exception_fp_ieee_underflow 0
		.amdhsa_exception_fp_ieee_inexact 0
		.amdhsa_exception_int_div_zero 0
	.end_amdhsa_kernel
	.section	.text._ZN5aiter22opus_moe_sorting_entryINS_16MoeSortingKernelINS_19MoeSortingProblemExIifLi1ELb0ELb0ELb0ELb1ELi0EEEEENS4_5KargsEEEvT0_,"axG",@progbits,_ZN5aiter22opus_moe_sorting_entryINS_16MoeSortingKernelINS_19MoeSortingProblemExIifLi1ELb0ELb0ELb0ELb1ELi0EEEEENS4_5KargsEEEvT0_,comdat
.Lfunc_end32:
	.size	_ZN5aiter22opus_moe_sorting_entryINS_16MoeSortingKernelINS_19MoeSortingProblemExIifLi1ELb0ELb0ELb0ELb1ELi0EEEEENS4_5KargsEEEvT0_, .Lfunc_end32-_ZN5aiter22opus_moe_sorting_entryINS_16MoeSortingKernelINS_19MoeSortingProblemExIifLi1ELb0ELb0ELb0ELb1ELi0EEEEENS4_5KargsEEEvT0_
                                        ; -- End function
	.section	.AMDGPU.csdata,"",@progbits
; Kernel info:
; codeLenInByte = 3396
; NumSgprs: 47
; NumVgprs: 26
; ScratchSize: 0
; MemoryBound: 0
; FloatMode: 240
; IeeeMode: 1
; LDSByteSize: 0 bytes/workgroup (compile time only)
; SGPRBlocks: 5
; VGPRBlocks: 3
; NumSGPRsForWavesPerEU: 47
; NumVGPRsForWavesPerEU: 26
; Occupancy: 16
; WaveLimiterHint : 1
; COMPUTE_PGM_RSRC2:SCRATCH_EN: 0
; COMPUTE_PGM_RSRC2:USER_SGPR: 15
; COMPUTE_PGM_RSRC2:TRAP_HANDLER: 0
; COMPUTE_PGM_RSRC2:TGID_X_EN: 1
; COMPUTE_PGM_RSRC2:TGID_Y_EN: 0
; COMPUTE_PGM_RSRC2:TGID_Z_EN: 0
; COMPUTE_PGM_RSRC2:TIDIG_COMP_CNT: 0
	.section	.text._ZN5aiter22opus_moe_sorting_entryINS_30MoeSortingClearWorkspaceKernelINS_31MoeSortingClearWorkspaceProblemILb1ELi1024ELi1EEEEENS4_5KargsEEEvT0_,"axG",@progbits,_ZN5aiter22opus_moe_sorting_entryINS_30MoeSortingClearWorkspaceKernelINS_31MoeSortingClearWorkspaceProblemILb1ELi1024ELi1EEEEENS4_5KargsEEEvT0_,comdat
	.protected	_ZN5aiter22opus_moe_sorting_entryINS_30MoeSortingClearWorkspaceKernelINS_31MoeSortingClearWorkspaceProblemILb1ELi1024ELi1EEEEENS4_5KargsEEEvT0_ ; -- Begin function _ZN5aiter22opus_moe_sorting_entryINS_30MoeSortingClearWorkspaceKernelINS_31MoeSortingClearWorkspaceProblemILb1ELi1024ELi1EEEEENS4_5KargsEEEvT0_
	.globl	_ZN5aiter22opus_moe_sorting_entryINS_30MoeSortingClearWorkspaceKernelINS_31MoeSortingClearWorkspaceProblemILb1ELi1024ELi1EEEEENS4_5KargsEEEvT0_
	.p2align	8
	.type	_ZN5aiter22opus_moe_sorting_entryINS_30MoeSortingClearWorkspaceKernelINS_31MoeSortingClearWorkspaceProblemILb1ELi1024ELi1EEEEENS4_5KargsEEEvT0_,@function
_ZN5aiter22opus_moe_sorting_entryINS_30MoeSortingClearWorkspaceKernelINS_31MoeSortingClearWorkspaceProblemILb1ELi1024ELi1EEEEENS4_5KargsEEEvT0_: ; @_ZN5aiter22opus_moe_sorting_entryINS_30MoeSortingClearWorkspaceKernelINS_31MoeSortingClearWorkspaceProblemILb1ELi1024ELi1EEEEENS4_5KargsEEEvT0_
; %bb.0:
	s_clause 0x2
	s_load_b128 s[4:7], s[0:1], 0x0
	s_load_b32 s2, s[0:1], 0x14
	s_load_b32 s3, s[0:1], 0x1c
	v_lshl_or_b32 v4, s15, 10, v0
	s_waitcnt lgkmcnt(0)
	s_load_b32 s4, s[4:5], 0x0
	s_mul_i32 s2, s2, s3
	s_mov_b32 s3, exec_lo
	s_waitcnt lgkmcnt(0)
	s_add_i32 s4, s4, 31
	s_delay_alu instid0(SALU_CYCLE_1) | instskip(NEXT) | instid1(SALU_CYCLE_1)
	s_ashr_i32 s5, s4, 31
	s_lshr_b32 s5, s5, 27
	s_delay_alu instid0(SALU_CYCLE_1) | instskip(NEXT) | instid1(SALU_CYCLE_1)
	s_add_i32 s4, s4, s5
	s_lshr_b32 s4, s4, 5
	s_delay_alu instid0(SALU_CYCLE_1) | instskip(NEXT) | instid1(SALU_CYCLE_1)
	s_mul_i32 s2, s2, s4
	s_lshl_b32 s2, s2, 5
	s_delay_alu instid0(SALU_CYCLE_1) | instskip(NEXT) | instid1(SALU_CYCLE_1)
	s_ashr_i32 s2, s2, 4
	v_cmpx_gt_i32_e64 s2, v4
	s_cbranch_execz .LBB33_3
; %bb.1:
	s_load_b32 s0, s[0:1], 0x20
	v_mov_b32_e32 v0, 0
	s_mov_b32 s3, 0
	s_delay_alu instid0(VALU_DEP_1)
	v_mov_b32_e32 v1, v0
	v_mov_b32_e32 v2, v0
	;; [unrolled: 1-line block ×3, first 2 shown]
	s_waitcnt lgkmcnt(0)
	s_lshl_b32 s1, s0, 10
.LBB33_2:                               ; =>This Inner Loop Header: Depth=1
	v_ashrrev_i32_e32 v5, 31, v4
	s_delay_alu instid0(VALU_DEP_1) | instskip(SKIP_1) | instid1(VALU_DEP_1)
	v_lshlrev_b64 v[5:6], 4, v[4:5]
	v_add_nc_u32_e32 v4, s1, v4
	v_cmp_le_i32_e32 vcc_lo, s2, v4
	s_delay_alu instid0(VALU_DEP_3) | instskip(NEXT) | instid1(VALU_DEP_1)
	v_add_co_u32 v5, s0, s6, v5
	v_add_co_ci_u32_e64 v6, s0, s7, v6, s0
	s_or_b32 s3, vcc_lo, s3
	global_store_b128 v[5:6], v[0:3], off
	s_and_not1_b32 exec_lo, exec_lo, s3
	s_cbranch_execnz .LBB33_2
.LBB33_3:
	s_nop 0
	s_sendmsg sendmsg(MSG_DEALLOC_VGPRS)
	s_endpgm
	.section	.rodata,"a",@progbits
	.p2align	6, 0x0
	.amdhsa_kernel _ZN5aiter22opus_moe_sorting_entryINS_30MoeSortingClearWorkspaceKernelINS_31MoeSortingClearWorkspaceProblemILb1ELi1024ELi1EEEEENS4_5KargsEEEvT0_
		.amdhsa_group_segment_fixed_size 0
		.amdhsa_private_segment_fixed_size 0
		.amdhsa_kernarg_size 288
		.amdhsa_user_sgpr_count 15
		.amdhsa_user_sgpr_dispatch_ptr 0
		.amdhsa_user_sgpr_queue_ptr 0
		.amdhsa_user_sgpr_kernarg_segment_ptr 1
		.amdhsa_user_sgpr_dispatch_id 0
		.amdhsa_user_sgpr_private_segment_size 0
		.amdhsa_wavefront_size32 1
		.amdhsa_uses_dynamic_stack 0
		.amdhsa_enable_private_segment 0
		.amdhsa_system_sgpr_workgroup_id_x 1
		.amdhsa_system_sgpr_workgroup_id_y 0
		.amdhsa_system_sgpr_workgroup_id_z 0
		.amdhsa_system_sgpr_workgroup_info 0
		.amdhsa_system_vgpr_workitem_id 0
		.amdhsa_next_free_vgpr 7
		.amdhsa_next_free_sgpr 16
		.amdhsa_reserve_vcc 1
		.amdhsa_float_round_mode_32 0
		.amdhsa_float_round_mode_16_64 0
		.amdhsa_float_denorm_mode_32 3
		.amdhsa_float_denorm_mode_16_64 3
		.amdhsa_dx10_clamp 1
		.amdhsa_ieee_mode 1
		.amdhsa_fp16_overflow 0
		.amdhsa_workgroup_processor_mode 1
		.amdhsa_memory_ordered 1
		.amdhsa_forward_progress 0
		.amdhsa_shared_vgpr_count 0
		.amdhsa_exception_fp_ieee_invalid_op 0
		.amdhsa_exception_fp_denorm_src 0
		.amdhsa_exception_fp_ieee_div_zero 0
		.amdhsa_exception_fp_ieee_overflow 0
		.amdhsa_exception_fp_ieee_underflow 0
		.amdhsa_exception_fp_ieee_inexact 0
		.amdhsa_exception_int_div_zero 0
	.end_amdhsa_kernel
	.section	.text._ZN5aiter22opus_moe_sorting_entryINS_30MoeSortingClearWorkspaceKernelINS_31MoeSortingClearWorkspaceProblemILb1ELi1024ELi1EEEEENS4_5KargsEEEvT0_,"axG",@progbits,_ZN5aiter22opus_moe_sorting_entryINS_30MoeSortingClearWorkspaceKernelINS_31MoeSortingClearWorkspaceProblemILb1ELi1024ELi1EEEEENS4_5KargsEEEvT0_,comdat
.Lfunc_end33:
	.size	_ZN5aiter22opus_moe_sorting_entryINS_30MoeSortingClearWorkspaceKernelINS_31MoeSortingClearWorkspaceProblemILb1ELi1024ELi1EEEEENS4_5KargsEEEvT0_, .Lfunc_end33-_ZN5aiter22opus_moe_sorting_entryINS_30MoeSortingClearWorkspaceKernelINS_31MoeSortingClearWorkspaceProblemILb1ELi1024ELi1EEEEENS4_5KargsEEEvT0_
                                        ; -- End function
	.section	.AMDGPU.csdata,"",@progbits
; Kernel info:
; codeLenInByte = 236
; NumSgprs: 18
; NumVgprs: 7
; ScratchSize: 0
; MemoryBound: 0
; FloatMode: 240
; IeeeMode: 1
; LDSByteSize: 0 bytes/workgroup (compile time only)
; SGPRBlocks: 2
; VGPRBlocks: 0
; NumSGPRsForWavesPerEU: 18
; NumVGPRsForWavesPerEU: 7
; Occupancy: 16
; WaveLimiterHint : 0
; COMPUTE_PGM_RSRC2:SCRATCH_EN: 0
; COMPUTE_PGM_RSRC2:USER_SGPR: 15
; COMPUTE_PGM_RSRC2:TRAP_HANDLER: 0
; COMPUTE_PGM_RSRC2:TGID_X_EN: 1
; COMPUTE_PGM_RSRC2:TGID_Y_EN: 0
; COMPUTE_PGM_RSRC2:TGID_Z_EN: 0
; COMPUTE_PGM_RSRC2:TIDIG_COMP_CNT: 0
	.section	.text._ZN5aiter22opus_moe_sorting_entryINS_30MoeSortingClearWorkspaceKernelINS_31MoeSortingClearWorkspaceProblemILb0ELi1024ELi1EEEEENS4_5KargsEEEvT0_,"axG",@progbits,_ZN5aiter22opus_moe_sorting_entryINS_30MoeSortingClearWorkspaceKernelINS_31MoeSortingClearWorkspaceProblemILb0ELi1024ELi1EEEEENS4_5KargsEEEvT0_,comdat
	.protected	_ZN5aiter22opus_moe_sorting_entryINS_30MoeSortingClearWorkspaceKernelINS_31MoeSortingClearWorkspaceProblemILb0ELi1024ELi1EEEEENS4_5KargsEEEvT0_ ; -- Begin function _ZN5aiter22opus_moe_sorting_entryINS_30MoeSortingClearWorkspaceKernelINS_31MoeSortingClearWorkspaceProblemILb0ELi1024ELi1EEEEENS4_5KargsEEEvT0_
	.globl	_ZN5aiter22opus_moe_sorting_entryINS_30MoeSortingClearWorkspaceKernelINS_31MoeSortingClearWorkspaceProblemILb0ELi1024ELi1EEEEENS4_5KargsEEEvT0_
	.p2align	8
	.type	_ZN5aiter22opus_moe_sorting_entryINS_30MoeSortingClearWorkspaceKernelINS_31MoeSortingClearWorkspaceProblemILb0ELi1024ELi1EEEEENS4_5KargsEEEvT0_,@function
_ZN5aiter22opus_moe_sorting_entryINS_30MoeSortingClearWorkspaceKernelINS_31MoeSortingClearWorkspaceProblemILb0ELi1024ELi1EEEEENS4_5KargsEEEvT0_: ; @_ZN5aiter22opus_moe_sorting_entryINS_30MoeSortingClearWorkspaceKernelINS_31MoeSortingClearWorkspaceProblemILb0ELi1024ELi1EEEEENS4_5KargsEEEvT0_
; %bb.0:
	s_load_b128 s[4:7], s[0:1], 0x14
	v_lshl_or_b32 v4, s15, 10, v0
	s_waitcnt lgkmcnt(0)
	s_mul_i32 s2, s5, s4
	s_delay_alu instid0(SALU_CYCLE_1) | instskip(NEXT) | instid1(SALU_CYCLE_1)
	s_mul_i32 s2, s2, s6
	s_ashr_i32 s3, s2, 31
	s_delay_alu instid0(SALU_CYCLE_1) | instskip(NEXT) | instid1(SALU_CYCLE_1)
	s_lshr_b32 s3, s3, 28
	s_add_i32 s2, s2, s3
	s_delay_alu instid0(SALU_CYCLE_1)
	s_ashr_i32 s4, s2, 4
	s_mov_b32 s2, exec_lo
	v_cmpx_gt_i32_e64 s4, v4
	s_cbranch_execz .LBB34_3
; %bb.1:
	s_clause 0x1
	s_load_b32 s5, s[0:1], 0x20
	s_load_b64 s[2:3], s[0:1], 0x8
	v_mov_b32_e32 v0, 0
	s_delay_alu instid0(VALU_DEP_1)
	v_mov_b32_e32 v1, v0
	v_mov_b32_e32 v2, v0
	v_mov_b32_e32 v3, v0
	s_waitcnt lgkmcnt(0)
	s_lshl_b32 s1, s5, 10
	s_mov_b32 s5, 0
.LBB34_2:                               ; =>This Inner Loop Header: Depth=1
	v_ashrrev_i32_e32 v5, 31, v4
	s_delay_alu instid0(VALU_DEP_1) | instskip(SKIP_1) | instid1(VALU_DEP_1)
	v_lshlrev_b64 v[5:6], 4, v[4:5]
	v_add_nc_u32_e32 v4, s1, v4
	v_cmp_le_i32_e32 vcc_lo, s4, v4
	s_delay_alu instid0(VALU_DEP_3) | instskip(NEXT) | instid1(VALU_DEP_1)
	v_add_co_u32 v5, s0, s2, v5
	v_add_co_ci_u32_e64 v6, s0, s3, v6, s0
	s_or_b32 s5, vcc_lo, s5
	global_store_b128 v[5:6], v[0:3], off
	s_and_not1_b32 exec_lo, exec_lo, s5
	s_cbranch_execnz .LBB34_2
.LBB34_3:
	s_nop 0
	s_sendmsg sendmsg(MSG_DEALLOC_VGPRS)
	s_endpgm
	.section	.rodata,"a",@progbits
	.p2align	6, 0x0
	.amdhsa_kernel _ZN5aiter22opus_moe_sorting_entryINS_30MoeSortingClearWorkspaceKernelINS_31MoeSortingClearWorkspaceProblemILb0ELi1024ELi1EEEEENS4_5KargsEEEvT0_
		.amdhsa_group_segment_fixed_size 0
		.amdhsa_private_segment_fixed_size 0
		.amdhsa_kernarg_size 288
		.amdhsa_user_sgpr_count 15
		.amdhsa_user_sgpr_dispatch_ptr 0
		.amdhsa_user_sgpr_queue_ptr 0
		.amdhsa_user_sgpr_kernarg_segment_ptr 1
		.amdhsa_user_sgpr_dispatch_id 0
		.amdhsa_user_sgpr_private_segment_size 0
		.amdhsa_wavefront_size32 1
		.amdhsa_uses_dynamic_stack 0
		.amdhsa_enable_private_segment 0
		.amdhsa_system_sgpr_workgroup_id_x 1
		.amdhsa_system_sgpr_workgroup_id_y 0
		.amdhsa_system_sgpr_workgroup_id_z 0
		.amdhsa_system_sgpr_workgroup_info 0
		.amdhsa_system_vgpr_workitem_id 0
		.amdhsa_next_free_vgpr 7
		.amdhsa_next_free_sgpr 16
		.amdhsa_reserve_vcc 1
		.amdhsa_float_round_mode_32 0
		.amdhsa_float_round_mode_16_64 0
		.amdhsa_float_denorm_mode_32 3
		.amdhsa_float_denorm_mode_16_64 3
		.amdhsa_dx10_clamp 1
		.amdhsa_ieee_mode 1
		.amdhsa_fp16_overflow 0
		.amdhsa_workgroup_processor_mode 1
		.amdhsa_memory_ordered 1
		.amdhsa_forward_progress 0
		.amdhsa_shared_vgpr_count 0
		.amdhsa_exception_fp_ieee_invalid_op 0
		.amdhsa_exception_fp_denorm_src 0
		.amdhsa_exception_fp_ieee_div_zero 0
		.amdhsa_exception_fp_ieee_overflow 0
		.amdhsa_exception_fp_ieee_underflow 0
		.amdhsa_exception_fp_ieee_inexact 0
		.amdhsa_exception_int_div_zero 0
	.end_amdhsa_kernel
	.section	.text._ZN5aiter22opus_moe_sorting_entryINS_30MoeSortingClearWorkspaceKernelINS_31MoeSortingClearWorkspaceProblemILb0ELi1024ELi1EEEEENS4_5KargsEEEvT0_,"axG",@progbits,_ZN5aiter22opus_moe_sorting_entryINS_30MoeSortingClearWorkspaceKernelINS_31MoeSortingClearWorkspaceProblemILb0ELi1024ELi1EEEEENS4_5KargsEEEvT0_,comdat
.Lfunc_end34:
	.size	_ZN5aiter22opus_moe_sorting_entryINS_30MoeSortingClearWorkspaceKernelINS_31MoeSortingClearWorkspaceProblemILb0ELi1024ELi1EEEEENS4_5KargsEEEvT0_, .Lfunc_end34-_ZN5aiter22opus_moe_sorting_entryINS_30MoeSortingClearWorkspaceKernelINS_31MoeSortingClearWorkspaceProblemILb0ELi1024ELi1EEEEENS4_5KargsEEEvT0_
                                        ; -- End function
	.section	.AMDGPU.csdata,"",@progbits
; Kernel info:
; codeLenInByte = 200
; NumSgprs: 18
; NumVgprs: 7
; ScratchSize: 0
; MemoryBound: 0
; FloatMode: 240
; IeeeMode: 1
; LDSByteSize: 0 bytes/workgroup (compile time only)
; SGPRBlocks: 2
; VGPRBlocks: 0
; NumSGPRsForWavesPerEU: 18
; NumVGPRsForWavesPerEU: 7
; Occupancy: 16
; WaveLimiterHint : 0
; COMPUTE_PGM_RSRC2:SCRATCH_EN: 0
; COMPUTE_PGM_RSRC2:USER_SGPR: 15
; COMPUTE_PGM_RSRC2:TRAP_HANDLER: 0
; COMPUTE_PGM_RSRC2:TGID_X_EN: 1
; COMPUTE_PGM_RSRC2:TGID_Y_EN: 0
; COMPUTE_PGM_RSRC2:TGID_Z_EN: 0
; COMPUTE_PGM_RSRC2:TIDIG_COMP_CNT: 0
	.section	.text._ZN5aiter22opus_moe_sorting_entryINS_32MoeSortingMultiPhaseKernel_P0_v2INS_19MoeSortingProblemMpIifhLi4ELb1ELb1ELb1EEEEENS4_5KargsEEEvT0_,"axG",@progbits,_ZN5aiter22opus_moe_sorting_entryINS_32MoeSortingMultiPhaseKernel_P0_v2INS_19MoeSortingProblemMpIifhLi4ELb1ELb1ELb1EEEEENS4_5KargsEEEvT0_,comdat
	.protected	_ZN5aiter22opus_moe_sorting_entryINS_32MoeSortingMultiPhaseKernel_P0_v2INS_19MoeSortingProblemMpIifhLi4ELb1ELb1ELb1EEEEENS4_5KargsEEEvT0_ ; -- Begin function _ZN5aiter22opus_moe_sorting_entryINS_32MoeSortingMultiPhaseKernel_P0_v2INS_19MoeSortingProblemMpIifhLi4ELb1ELb1ELb1EEEEENS4_5KargsEEEvT0_
	.globl	_ZN5aiter22opus_moe_sorting_entryINS_32MoeSortingMultiPhaseKernel_P0_v2INS_19MoeSortingProblemMpIifhLi4ELb1ELb1ELb1EEEEENS4_5KargsEEEvT0_
	.p2align	8
	.type	_ZN5aiter22opus_moe_sorting_entryINS_32MoeSortingMultiPhaseKernel_P0_v2INS_19MoeSortingProblemMpIifhLi4ELb1ELb1ELb1EEEEENS4_5KargsEEEvT0_,@function
_ZN5aiter22opus_moe_sorting_entryINS_32MoeSortingMultiPhaseKernel_P0_v2INS_19MoeSortingProblemMpIifhLi4ELb1ELb1ELb1EEEEENS4_5KargsEEEvT0_: ; @_ZN5aiter22opus_moe_sorting_entryINS_32MoeSortingMultiPhaseKernel_P0_v2INS_19MoeSortingProblemMpIifhLi4ELb1ELb1ELb1EEEEENS4_5KargsEEEvT0_
; %bb.0:
	s_mov_b32 s18, s15
	s_clause 0x1
	s_load_b128 s[12:15], s[0:1], 0x0
	s_load_b64 s[16:17], s[0:1], 0x10
	s_ashr_i32 s19, s18, 31
	s_waitcnt lgkmcnt(0)
	s_load_b32 s22, s[14:15], 0x0
	s_load_b256 s[4:11], s[0:1], 0x20
	s_lshl_b64 s[2:3], s[18:19], 2
	s_mov_b32 s15, exec_lo
	s_waitcnt lgkmcnt(0)
	s_add_i32 s23, s22, 31
	s_delay_alu instid0(SALU_CYCLE_1) | instskip(NEXT) | instid1(SALU_CYCLE_1)
	s_ashr_i32 s0, s23, 31
	s_lshr_b32 s0, s0, 27
	s_delay_alu instid0(SALU_CYCLE_1) | instskip(NEXT) | instid1(SALU_CYCLE_1)
	s_add_i32 s23, s23, s0
	s_and_b32 s14, s23, 0xffffffe0
	s_add_u32 s0, s8, s2
	s_addc_u32 s1, s9, s3
	s_load_b32 s19, s[0:1], 0x0
	s_mul_i32 s1, s14, s18
	s_delay_alu instid0(SALU_CYCLE_1)
	s_ashr_i32 s7, s1, 31
	s_add_u32 s8, s16, s1
	s_addc_u32 s9, s17, s7
	v_cmpx_gt_i32_e64 s14, v0
	s_cbranch_execz .LBB35_8
; %bb.1:
	v_xad_u32 v2, v0, -1, s14
	v_mov_b32_e32 v1, v0
	s_mov_b32 s20, -1
	s_mov_b32 s0, exec_lo
	s_delay_alu instid0(VALU_DEP_2)
	v_cmpx_lt_u32_e32 0xdff, v2
	s_cbranch_execz .LBB35_5
; %bb.2:
	v_lshrrev_b32_e32 v1, 9, v2
	v_add_nc_u32_e32 v3, 0x600, v0
	v_or_b32_e32 v2, 0x400, v0
	s_mov_b32 s20, 0
	v_mov_b32_e32 v7, 0
	v_add_nc_u32_e32 v5, 1, v1
	v_add_nc_u32_e32 v1, 0x200, v0
	v_mov_b32_e32 v4, v3
	v_mov_b32_e32 v3, v2
	s_delay_alu instid0(VALU_DEP_3) | instskip(SKIP_1) | instid1(VALU_DEP_1)
	v_mov_b32_e32 v2, v1
	v_dual_mov_b32 v1, v0 :: v_dual_and_b32 v6, 0xfffff8, v5
	v_mov_b32_e32 v8, v6
.LBB35_3:                               ; =>This Inner Loop Header: Depth=1
	s_delay_alu instid0(VALU_DEP_2) | instskip(NEXT) | instid1(VALU_DEP_1)
	v_add_co_u32 v9, s21, s8, v1
	v_add_co_ci_u32_e64 v10, null, s9, 0, s21
	v_add_co_u32 v11, s21, s8, v2
	v_add_nc_u32_e32 v17, 0x800, v1
	v_add_co_ci_u32_e64 v12, null, s9, 0, s21
	v_add_co_u32 v13, s21, s8, v3
	v_add_nc_u32_e32 v19, 0x800, v2
	;; [unrolled: 3-line block ×3, first 2 shown]
	v_add_co_ci_u32_e64 v16, null, s9, 0, s21
	v_add_nc_u32_e32 v8, -8, v8
	v_add_co_u32 v17, s21, s8, v17
	v_add_nc_u32_e32 v23, 0x800, v4
	v_add_co_ci_u32_e64 v18, null, s9, 0, s21
	v_add_co_u32 v19, s21, s8, v19
	s_delay_alu instid0(VALU_DEP_1)
	v_add_co_ci_u32_e64 v20, null, s9, 0, s21
	v_add_co_u32 v21, s21, s8, v21
	v_cmp_eq_u32_e32 vcc_lo, 0, v8
	v_add_co_ci_u32_e64 v22, null, s9, 0, s21
	v_add_co_u32 v23, s21, s8, v23
	v_add_nc_u32_e32 v4, 0x1000, v4
	v_add_nc_u32_e32 v3, 0x1000, v3
	;; [unrolled: 1-line block ×4, first 2 shown]
	v_add_co_ci_u32_e64 v24, null, s9, 0, s21
	s_or_b32 s20, vcc_lo, s20
	s_clause 0x7
	global_store_b8 v[9:10], v7, off
	global_store_b8 v[11:12], v7, off
	;; [unrolled: 1-line block ×8, first 2 shown]
	s_and_not1_b32 exec_lo, exec_lo, s20
	s_cbranch_execnz .LBB35_3
; %bb.4:
	s_or_b32 exec_lo, exec_lo, s20
	v_cmp_ne_u32_e32 vcc_lo, v5, v6
	v_lshl_or_b32 v1, v6, 9, v0
	s_or_not1_b32 s20, vcc_lo, exec_lo
.LBB35_5:
	s_or_b32 exec_lo, exec_lo, s0
	s_delay_alu instid0(SALU_CYCLE_1)
	s_and_b32 exec_lo, exec_lo, s20
	s_cbranch_execz .LBB35_8
; %bb.6:
	v_mov_b32_e32 v2, 0
	s_mov_b32 s20, 0
	s_delay_alu instid0(VALU_DEP_1)
	v_dual_mov_b32 v4, v2 :: v_dual_mov_b32 v3, v1
.LBB35_7:                               ; =>This Inner Loop Header: Depth=1
	s_delay_alu instid0(VALU_DEP_1) | instskip(SKIP_1) | instid1(VALU_DEP_3)
	v_add_co_u32 v5, vcc_lo, s8, v3
	v_add_co_u32 v3, s0, 0x200, v3
	v_add_co_ci_u32_e32 v6, vcc_lo, s9, v4, vcc_lo
	v_add_co_ci_u32_e64 v4, vcc_lo, 0, v4, s0
	s_delay_alu instid0(VALU_DEP_3) | instskip(SKIP_2) | instid1(SALU_CYCLE_1)
	v_cmp_le_i32_e32 vcc_lo, s14, v3
	global_store_b8 v[5:6], v2, off
	s_or_b32 s20, vcc_lo, s20
	s_and_not1_b32 exec_lo, exec_lo, s20
	s_cbranch_execnz .LBB35_7
.LBB35_8:
	s_or_b32 exec_lo, exec_lo, s15
	s_add_i32 s0, s22, 3
	s_mov_b32 s25, exec_lo
	s_ashr_i32 s14, s0, 31
	s_waitcnt lgkmcnt(0)
	s_waitcnt_vscnt null, 0x0
	s_lshr_b32 s14, s14, 30
	s_barrier
	s_add_i32 s0, s0, s14
	buffer_gl0_inv
	s_lshr_b32 s0, s0, 2
	s_delay_alu instid0(SALU_CYCLE_1) | instskip(NEXT) | instid1(SALU_CYCLE_1)
	s_mul_i32 s24, s4, s0
	s_and_not1_b32 s24, s24, -2.0
	s_delay_alu instid0(SALU_CYCLE_1)
	v_cmpx_gt_u32_e64 s24, v0
	s_cbranch_execz .LBB35_56
; %bb.9:
	v_xad_u32 v16, v0, -1, s24
	v_mov_b32_e32 v5, v0
	s_mov_b32 s15, 0
	s_mov_b32 s14, s5
	s_mov_b32 s5, exec_lo
	v_lshrrev_b32_e32 v1, 9, v16
	s_delay_alu instid0(VALU_DEP_1) | instskip(NEXT) | instid1(VALU_DEP_1)
	v_add_nc_u32_e32 v1, 1, v1
	v_and_b32_e32 v1, 3, v1
	s_delay_alu instid0(VALU_DEP_1)
	v_cmpx_ne_u32_e32 0, v1
	s_cbranch_execz .LBB35_21
; %bb.10:
	v_lshlrev_b32_e32 v17, 2, v0
	v_mad_u64_u32 v[2:3], null, v0, s14, 0
	v_lshlrev_b32_e32 v14, 4, v0
	v_lshlrev_b32_e32 v18, 11, v1
	s_delay_alu instid0(VALU_DEP_4) | instskip(SKIP_3) | instid1(VALU_DEP_4)
	v_or_b32_e32 v4, 3, v17
	v_or_b32_e32 v5, 2, v17
	v_mad_u64_u32 v[10:11], null, s14, v17, s[14:15]
	v_lshlrev_b64 v[12:13], 2, v[2:3]
	v_mad_u64_u32 v[6:7], null, v4, s14, 0
	s_delay_alu instid0(VALU_DEP_4) | instskip(SKIP_2) | instid1(VALU_DEP_1)
	v_mad_u64_u32 v[8:9], null, v5, s14, 0
	v_mov_b32_e32 v5, v0
	v_add_co_u32 v14, s0, s12, v14
	v_add_co_ci_u32_e64 v15, null, s13, 0, s0
	s_sub_i32 s26, 0, s4
	s_lshl_b64 s[20:21], s[14:15], 11
	s_mov_b32 s27, s15
	s_branch .LBB35_12
.LBB35_11:                              ;   in Loop: Header=BB35_12 Depth=1
	s_or_b32 exec_lo, exec_lo, s0
	v_add_co_u32 v6, vcc_lo, v6, s20
	v_add_co_ci_u32_e32 v7, vcc_lo, s21, v7, vcc_lo
	v_add_co_u32 v8, vcc_lo, v8, s20
	v_add_co_ci_u32_e32 v9, vcc_lo, s21, v9, vcc_lo
	;; [unrolled: 2-line block ×3, first 2 shown]
	v_add_co_u32 v12, vcc_lo, v12, s20
	s_addk_i32 s27, 0x800
	v_add_co_ci_u32_e32 v13, vcc_lo, s21, v13, vcc_lo
	v_cmp_eq_u32_e32 vcc_lo, s27, v18
	v_add_co_u32 v14, s0, 0x2000, v14
	v_add_nc_u32_e32 v5, 0x200, v5
	v_add_co_ci_u32_e64 v15, s0, 0, v15, s0
	s_or_b32 s15, vcc_lo, s15
	s_delay_alu instid0(SALU_CYCLE_1)
	s_and_not1_b32 exec_lo, exec_lo, s15
	s_cbranch_execz .LBB35_20
.LBB35_12:                              ; =>This Inner Loop Header: Depth=1
	global_load_b128 v[1:4], v[14:15], off
	v_add3_u32 v19, v17, v13, s27
	s_delay_alu instid0(VALU_DEP_1) | instskip(NEXT) | instid1(VALU_DEP_1)
	v_lshrrev_b32_e32 v19, s6, v19
	v_cmp_gt_i32_e64 s0, s22, v19
	s_waitcnt vmcnt(0)
	v_cmp_eq_u32_e32 vcc_lo, s18, v1
	s_delay_alu instid0(VALU_DEP_2) | instskip(NEXT) | instid1(SALU_CYCLE_1)
	s_and_b32 s28, vcc_lo, s0
	s_and_saveexec_b32 s0, s28
	s_cbranch_execz .LBB35_14
; %bb.13:                               ;   in Loop: Header=BB35_12 Depth=1
	v_mul_lo_u32 v1, s26, v19
	s_delay_alu instid0(VALU_DEP_1) | instskip(NEXT) | instid1(VALU_DEP_1)
	v_add3_u32 v1, v17, s27, v1
	v_add_nc_u16 v1, v1, 1
	global_store_b8 v19, v1, s[8:9]
.LBB35_14:                              ;   in Loop: Header=BB35_12 Depth=1
	s_or_b32 exec_lo, exec_lo, s0
	v_add_nc_u32_e32 v1, s27, v17
	v_cmp_eq_u32_e32 vcc_lo, s18, v2
	s_delay_alu instid0(VALU_DEP_2) | instskip(NEXT) | instid1(VALU_DEP_1)
	v_add3_u32 v19, v11, v1, 1
	v_lshrrev_b32_e32 v19, s6, v19
	s_delay_alu instid0(VALU_DEP_1) | instskip(NEXT) | instid1(VALU_DEP_1)
	v_cmp_gt_i32_e64 s0, s22, v19
	s_and_b32 s28, vcc_lo, s0
	s_delay_alu instid0(SALU_CYCLE_1)
	s_and_saveexec_b32 s0, s28
	s_cbranch_execz .LBB35_16
; %bb.15:                               ;   in Loop: Header=BB35_12 Depth=1
	v_mad_u64_u32 v[20:21], null, s26, v19, v[1:2]
	s_delay_alu instid0(VALU_DEP_1)
	v_add_nc_u16 v2, v20, 2
	global_store_b8 v19, v2, s[8:9]
.LBB35_16:                              ;   in Loop: Header=BB35_12 Depth=1
	s_or_b32 exec_lo, exec_lo, s0
	v_add3_u32 v2, v9, v1, 2
	v_cmp_eq_u32_e32 vcc_lo, s18, v3
	s_delay_alu instid0(VALU_DEP_2) | instskip(NEXT) | instid1(VALU_DEP_1)
	v_lshrrev_b32_e32 v2, s6, v2
	v_cmp_gt_i32_e64 s0, s22, v2
	s_delay_alu instid0(VALU_DEP_1) | instskip(NEXT) | instid1(SALU_CYCLE_1)
	s_and_b32 s28, vcc_lo, s0
	s_and_saveexec_b32 s0, s28
	s_cbranch_execz .LBB35_18
; %bb.17:                               ;   in Loop: Header=BB35_12 Depth=1
	v_mad_u64_u32 v[19:20], null, s26, v2, v[1:2]
	s_delay_alu instid0(VALU_DEP_1)
	v_add_nc_u16 v3, v19, 3
	global_store_b8 v2, v3, s[8:9]
.LBB35_18:                              ;   in Loop: Header=BB35_12 Depth=1
	s_or_b32 exec_lo, exec_lo, s0
	v_add3_u32 v2, v7, v1, 3
	v_cmp_eq_u32_e32 vcc_lo, s18, v4
	s_delay_alu instid0(VALU_DEP_2) | instskip(NEXT) | instid1(VALU_DEP_1)
	v_lshrrev_b32_e32 v2, s6, v2
	v_cmp_gt_i32_e64 s0, s22, v2
	s_delay_alu instid0(VALU_DEP_1) | instskip(NEXT) | instid1(SALU_CYCLE_1)
	s_and_b32 s28, vcc_lo, s0
	s_and_saveexec_b32 s0, s28
	s_cbranch_execz .LBB35_11
; %bb.19:                               ;   in Loop: Header=BB35_12 Depth=1
	v_mad_u64_u32 v[3:4], null, s26, v2, v[1:2]
	s_delay_alu instid0(VALU_DEP_1)
	v_add_nc_u16 v1, v3, 4
	global_store_b8 v2, v1, s[8:9]
	s_branch .LBB35_11
.LBB35_20:
	s_or_b32 exec_lo, exec_lo, s15
.LBB35_21:
	s_delay_alu instid0(SALU_CYCLE_1)
	s_or_b32 exec_lo, exec_lo, s5
	v_cmp_lt_u32_e32 vcc_lo, 0x5ff, v16
	s_and_b32 exec_lo, exec_lo, vcc_lo
	s_cbranch_execz .LBB35_56
; %bb.22:
	v_lshlrev_b32_e32 v10, 2, v5
	v_mov_b32_e32 v6, 0
	s_mov_b32 s5, 0
	s_sub_i32 s4, 0, s4
	s_delay_alu instid0(VALU_DEP_2) | instskip(NEXT) | instid1(VALU_DEP_2)
	v_add_nc_u32_e32 v7, 0x1803, v10
	v_lshlrev_b64 v[1:2], 4, v[5:6]
	v_add_nc_u32_e32 v6, 0x1802, v10
	v_add_nc_u32_e32 v11, 0x1801, v10
	;; [unrolled: 1-line block ×5, first 2 shown]
	v_add_co_u32 v8, vcc_lo, s12, v1
	v_add_co_ci_u32_e32 v9, vcc_lo, s13, v2, vcc_lo
	v_add_nc_u32_e32 v15, 0x1001, v10
	v_add_nc_u32_e32 v16, 0x1000, v10
	v_or_b32_e32 v17, 1, v10
	v_or_b32_e32 v18, 2, v10
	;; [unrolled: 1-line block ×3, first 2 shown]
	v_add_nc_u32_e32 v20, 0x803, v10
	v_add_nc_u32_e32 v21, 0x802, v10
	;; [unrolled: 1-line block ×4, first 2 shown]
	s_branch .LBB35_24
.LBB35_23:                              ;   in Loop: Header=BB35_24 Depth=1
	s_or_b32 exec_lo, exec_lo, s0
	v_add_nc_u32_e32 v5, 0x800, v5
	v_add_co_u32 v8, vcc_lo, 0x8000, v8
	v_add_co_ci_u32_e32 v9, vcc_lo, 0, v9, vcc_lo
	s_delay_alu instid0(VALU_DEP_3)
	v_cmp_le_u32_e32 vcc_lo, s24, v5
	v_add_nc_u32_e32 v7, 0x2000, v7
	v_add_nc_u32_e32 v6, 0x2000, v6
	;; [unrolled: 1-line block ×16, first 2 shown]
	s_or_b32 s5, vcc_lo, s5
	s_delay_alu instid0(SALU_CYCLE_1)
	s_and_not1_b32 exec_lo, exec_lo, s5
	s_cbranch_execz .LBB35_56
.LBB35_24:                              ; =>This Inner Loop Header: Depth=1
	global_load_b128 v[1:4], v[8:9], off
	v_mul_hi_u32 v24, s14, v10
	s_delay_alu instid0(VALU_DEP_1) | instskip(NEXT) | instid1(VALU_DEP_1)
	v_add3_u32 v24, v7, v24, 0xffffe7fd
	v_lshrrev_b32_e32 v24, s6, v24
	s_delay_alu instid0(VALU_DEP_1) | instskip(SKIP_2) | instid1(VALU_DEP_2)
	v_cmp_gt_i32_e64 s0, s22, v24
	s_waitcnt vmcnt(0)
	v_cmp_eq_u32_e32 vcc_lo, s18, v1
	s_and_b32 s12, vcc_lo, s0
	s_delay_alu instid0(SALU_CYCLE_1)
	s_and_saveexec_b32 s0, s12
	s_cbranch_execz .LBB35_26
; %bb.25:                               ;   in Loop: Header=BB35_24 Depth=1
	v_mad_u64_u32 v[25:26], null, s4, v24, v[7:8]
	s_delay_alu instid0(VALU_DEP_1)
	v_add_nc_u16 v1, v25, -2
	global_store_b8 v24, v1, s[8:9]
.LBB35_26:                              ;   in Loop: Header=BB35_24 Depth=1
	s_or_b32 exec_lo, exec_lo, s0
	v_mul_hi_u32 v1, s14, v17
	v_cmp_eq_u32_e32 vcc_lo, s18, v2
	s_delay_alu instid0(VALU_DEP_2) | instskip(NEXT) | instid1(VALU_DEP_1)
	v_add3_u32 v1, v7, v1, 0xffffe7fe
	v_lshrrev_b32_e32 v1, s6, v1
	s_delay_alu instid0(VALU_DEP_1) | instskip(NEXT) | instid1(VALU_DEP_1)
	v_cmp_gt_i32_e64 s0, s22, v1
	s_and_b32 s12, vcc_lo, s0
	s_delay_alu instid0(SALU_CYCLE_1)
	s_and_saveexec_b32 s0, s12
	s_cbranch_execz .LBB35_28
; %bb.27:                               ;   in Loop: Header=BB35_24 Depth=1
	v_mad_u64_u32 v[24:25], null, s4, v1, v[7:8]
	s_delay_alu instid0(VALU_DEP_1)
	v_add_nc_u16 v2, v24, -1
	global_store_b8 v1, v2, s[8:9]
.LBB35_28:                              ;   in Loop: Header=BB35_24 Depth=1
	s_or_b32 exec_lo, exec_lo, s0
	v_mul_hi_u32 v1, s14, v18
	v_cmp_eq_u32_e32 vcc_lo, s18, v3
	s_delay_alu instid0(VALU_DEP_2) | instskip(NEXT) | instid1(VALU_DEP_1)
	v_add3_u32 v1, v7, v1, 0xffffe7ff
	v_lshrrev_b32_e32 v1, s6, v1
	s_delay_alu instid0(VALU_DEP_1) | instskip(NEXT) | instid1(VALU_DEP_1)
	v_cmp_gt_i32_e64 s0, s22, v1
	s_and_b32 s12, vcc_lo, s0
	s_delay_alu instid0(SALU_CYCLE_1)
	s_and_saveexec_b32 s0, s12
	s_cbranch_execz .LBB35_30
; %bb.29:                               ;   in Loop: Header=BB35_24 Depth=1
	v_mad_u64_u32 v[2:3], null, s4, v1, v[7:8]
	global_store_b8 v1, v2, s[8:9]
.LBB35_30:                              ;   in Loop: Header=BB35_24 Depth=1
	s_or_b32 exec_lo, exec_lo, s0
	v_mul_hi_u32 v1, s14, v19
	v_cmp_eq_u32_e32 vcc_lo, s18, v4
	s_delay_alu instid0(VALU_DEP_2) | instskip(NEXT) | instid1(VALU_DEP_1)
	v_add3_u32 v1, v7, v1, 0xffffe800
	v_lshrrev_b32_e32 v1, s6, v1
	s_delay_alu instid0(VALU_DEP_1) | instskip(NEXT) | instid1(VALU_DEP_1)
	v_cmp_gt_i32_e64 s0, s22, v1
	s_and_b32 s12, vcc_lo, s0
	s_delay_alu instid0(SALU_CYCLE_1)
	s_and_saveexec_b32 s0, s12
	s_cbranch_execz .LBB35_32
; %bb.31:                               ;   in Loop: Header=BB35_24 Depth=1
	v_mad_u64_u32 v[2:3], null, s4, v1, v[7:8]
	s_delay_alu instid0(VALU_DEP_1)
	v_add_nc_u16 v2, v2, 1
	global_store_b8 v1, v2, s[8:9]
.LBB35_32:                              ;   in Loop: Header=BB35_24 Depth=1
	s_or_b32 exec_lo, exec_lo, s0
	v_add_co_u32 v1, vcc_lo, 0x2000, v8
	v_add_co_ci_u32_e32 v2, vcc_lo, 0, v9, vcc_lo
	v_mul_hi_u32 v24, s14, v23
	global_load_b128 v[1:4], v[1:2], off
	v_add3_u32 v24, v7, v24, 0xffffeffd
	s_delay_alu instid0(VALU_DEP_1) | instskip(NEXT) | instid1(VALU_DEP_1)
	v_lshrrev_b32_e32 v24, s6, v24
	v_cmp_gt_i32_e64 s0, s22, v24
	s_waitcnt vmcnt(0)
	v_cmp_eq_u32_e32 vcc_lo, s18, v1
	s_delay_alu instid0(VALU_DEP_2) | instskip(NEXT) | instid1(SALU_CYCLE_1)
	s_and_b32 s12, vcc_lo, s0
	s_and_saveexec_b32 s0, s12
	s_cbranch_execz .LBB35_34
; %bb.33:                               ;   in Loop: Header=BB35_24 Depth=1
	v_mad_u64_u32 v[25:26], null, s4, v24, v[7:8]
	s_delay_alu instid0(VALU_DEP_1)
	v_add_nc_u16 v1, v25, -2
	global_store_b8 v24, v1, s[8:9]
.LBB35_34:                              ;   in Loop: Header=BB35_24 Depth=1
	s_or_b32 exec_lo, exec_lo, s0
	v_mul_hi_u32 v1, s14, v22
	v_cmp_eq_u32_e32 vcc_lo, s18, v2
	s_delay_alu instid0(VALU_DEP_2) | instskip(NEXT) | instid1(VALU_DEP_1)
	v_add3_u32 v1, v7, v1, 0xffffeffe
	v_lshrrev_b32_e32 v1, s6, v1
	s_delay_alu instid0(VALU_DEP_1) | instskip(NEXT) | instid1(VALU_DEP_1)
	v_cmp_gt_i32_e64 s0, s22, v1
	s_and_b32 s12, vcc_lo, s0
	s_delay_alu instid0(SALU_CYCLE_1)
	s_and_saveexec_b32 s0, s12
	s_cbranch_execz .LBB35_36
; %bb.35:                               ;   in Loop: Header=BB35_24 Depth=1
	v_mad_u64_u32 v[24:25], null, s4, v1, v[7:8]
	s_delay_alu instid0(VALU_DEP_1)
	v_add_nc_u16 v2, v24, -1
	global_store_b8 v1, v2, s[8:9]
.LBB35_36:                              ;   in Loop: Header=BB35_24 Depth=1
	s_or_b32 exec_lo, exec_lo, s0
	v_mul_hi_u32 v1, s14, v21
	v_cmp_eq_u32_e32 vcc_lo, s18, v3
	s_delay_alu instid0(VALU_DEP_2) | instskip(NEXT) | instid1(VALU_DEP_1)
	v_add3_u32 v1, v7, v1, 0xffffefff
	v_lshrrev_b32_e32 v1, s6, v1
	s_delay_alu instid0(VALU_DEP_1) | instskip(NEXT) | instid1(VALU_DEP_1)
	v_cmp_gt_i32_e64 s0, s22, v1
	s_and_b32 s12, vcc_lo, s0
	s_delay_alu instid0(SALU_CYCLE_1)
	s_and_saveexec_b32 s0, s12
	s_cbranch_execz .LBB35_38
; %bb.37:                               ;   in Loop: Header=BB35_24 Depth=1
	v_mad_u64_u32 v[2:3], null, s4, v1, v[7:8]
	global_store_b8 v1, v2, s[8:9]
.LBB35_38:                              ;   in Loop: Header=BB35_24 Depth=1
	s_or_b32 exec_lo, exec_lo, s0
	v_mul_hi_u32 v1, s14, v20
	v_cmp_eq_u32_e32 vcc_lo, s18, v4
	s_delay_alu instid0(VALU_DEP_2) | instskip(NEXT) | instid1(VALU_DEP_1)
	v_add3_u32 v1, v7, v1, 0xfffff000
	v_lshrrev_b32_e32 v1, s6, v1
	s_delay_alu instid0(VALU_DEP_1) | instskip(NEXT) | instid1(VALU_DEP_1)
	v_cmp_gt_i32_e64 s0, s22, v1
	s_and_b32 s12, vcc_lo, s0
	s_delay_alu instid0(SALU_CYCLE_1)
	s_and_saveexec_b32 s0, s12
	s_cbranch_execz .LBB35_40
; %bb.39:                               ;   in Loop: Header=BB35_24 Depth=1
	v_mad_u64_u32 v[2:3], null, s4, v1, v[7:8]
	s_delay_alu instid0(VALU_DEP_1)
	v_add_nc_u16 v2, v2, 1
	global_store_b8 v1, v2, s[8:9]
.LBB35_40:                              ;   in Loop: Header=BB35_24 Depth=1
	s_or_b32 exec_lo, exec_lo, s0
	v_add_co_u32 v1, vcc_lo, 0x4000, v8
	v_add_co_ci_u32_e32 v2, vcc_lo, 0, v9, vcc_lo
	v_mul_hi_u32 v24, s14, v16
	global_load_b128 v[1:4], v[1:2], off
	v_add3_u32 v24, v7, v24, 0xfffff7fd
	s_delay_alu instid0(VALU_DEP_1) | instskip(NEXT) | instid1(VALU_DEP_1)
	v_lshrrev_b32_e32 v24, s6, v24
	v_cmp_gt_i32_e64 s0, s22, v24
	s_waitcnt vmcnt(0)
	v_cmp_eq_u32_e32 vcc_lo, s18, v1
	s_delay_alu instid0(VALU_DEP_2) | instskip(NEXT) | instid1(SALU_CYCLE_1)
	s_and_b32 s12, vcc_lo, s0
	s_and_saveexec_b32 s0, s12
	s_cbranch_execz .LBB35_42
; %bb.41:                               ;   in Loop: Header=BB35_24 Depth=1
	v_mad_u64_u32 v[25:26], null, s4, v24, v[7:8]
	s_delay_alu instid0(VALU_DEP_1)
	v_add_nc_u16 v1, v25, -2
	global_store_b8 v24, v1, s[8:9]
.LBB35_42:                              ;   in Loop: Header=BB35_24 Depth=1
	s_or_b32 exec_lo, exec_lo, s0
	v_mul_hi_u32 v1, s14, v15
	v_cmp_eq_u32_e32 vcc_lo, s18, v2
	s_delay_alu instid0(VALU_DEP_2) | instskip(NEXT) | instid1(VALU_DEP_1)
	v_add3_u32 v1, v7, v1, 0xfffff7fe
	v_lshrrev_b32_e32 v1, s6, v1
	s_delay_alu instid0(VALU_DEP_1) | instskip(NEXT) | instid1(VALU_DEP_1)
	v_cmp_gt_i32_e64 s0, s22, v1
	s_and_b32 s12, vcc_lo, s0
	s_delay_alu instid0(SALU_CYCLE_1)
	s_and_saveexec_b32 s0, s12
	s_cbranch_execz .LBB35_44
; %bb.43:                               ;   in Loop: Header=BB35_24 Depth=1
	v_mad_u64_u32 v[24:25], null, s4, v1, v[7:8]
	s_delay_alu instid0(VALU_DEP_1)
	v_add_nc_u16 v2, v24, -1
	global_store_b8 v1, v2, s[8:9]
.LBB35_44:                              ;   in Loop: Header=BB35_24 Depth=1
	s_or_b32 exec_lo, exec_lo, s0
	v_mul_hi_u32 v1, s14, v14
	v_cmp_eq_u32_e32 vcc_lo, s18, v3
	s_delay_alu instid0(VALU_DEP_2) | instskip(NEXT) | instid1(VALU_DEP_1)
	v_add3_u32 v1, v7, v1, 0xfffff7ff
	v_lshrrev_b32_e32 v1, s6, v1
	s_delay_alu instid0(VALU_DEP_1) | instskip(NEXT) | instid1(VALU_DEP_1)
	v_cmp_gt_i32_e64 s0, s22, v1
	s_and_b32 s12, vcc_lo, s0
	s_delay_alu instid0(SALU_CYCLE_1)
	s_and_saveexec_b32 s0, s12
	s_cbranch_execz .LBB35_46
; %bb.45:                               ;   in Loop: Header=BB35_24 Depth=1
	v_mad_u64_u32 v[2:3], null, s4, v1, v[7:8]
	global_store_b8 v1, v2, s[8:9]
.LBB35_46:                              ;   in Loop: Header=BB35_24 Depth=1
	s_or_b32 exec_lo, exec_lo, s0
	v_mul_hi_u32 v1, s14, v13
	v_cmp_eq_u32_e32 vcc_lo, s18, v4
	s_delay_alu instid0(VALU_DEP_2) | instskip(NEXT) | instid1(VALU_DEP_1)
	v_add3_u32 v1, v7, v1, 0xfffff800
	v_lshrrev_b32_e32 v1, s6, v1
	s_delay_alu instid0(VALU_DEP_1) | instskip(NEXT) | instid1(VALU_DEP_1)
	v_cmp_gt_i32_e64 s0, s22, v1
	s_and_b32 s12, vcc_lo, s0
	s_delay_alu instid0(SALU_CYCLE_1)
	s_and_saveexec_b32 s0, s12
	s_cbranch_execz .LBB35_48
; %bb.47:                               ;   in Loop: Header=BB35_24 Depth=1
	v_mad_u64_u32 v[2:3], null, s4, v1, v[7:8]
	s_delay_alu instid0(VALU_DEP_1)
	v_add_nc_u16 v2, v2, 1
	global_store_b8 v1, v2, s[8:9]
.LBB35_48:                              ;   in Loop: Header=BB35_24 Depth=1
	s_or_b32 exec_lo, exec_lo, s0
	v_add_co_u32 v1, vcc_lo, 0x6000, v8
	v_add_co_ci_u32_e32 v2, vcc_lo, 0, v9, vcc_lo
	v_mul_hi_u32 v24, s14, v12
	global_load_b128 v[1:4], v[1:2], off
	v_add3_u32 v24, v7, v24, -3
	s_delay_alu instid0(VALU_DEP_1) | instskip(NEXT) | instid1(VALU_DEP_1)
	v_lshrrev_b32_e32 v24, s6, v24
	v_cmp_gt_i32_e64 s0, s22, v24
	s_waitcnt vmcnt(0)
	v_cmp_eq_u32_e32 vcc_lo, s18, v1
	s_delay_alu instid0(VALU_DEP_2) | instskip(NEXT) | instid1(SALU_CYCLE_1)
	s_and_b32 s12, vcc_lo, s0
	s_and_saveexec_b32 s0, s12
	s_cbranch_execz .LBB35_50
; %bb.49:                               ;   in Loop: Header=BB35_24 Depth=1
	v_mad_u64_u32 v[25:26], null, s4, v24, v[7:8]
	s_delay_alu instid0(VALU_DEP_1)
	v_add_nc_u16 v1, v25, -2
	global_store_b8 v24, v1, s[8:9]
.LBB35_50:                              ;   in Loop: Header=BB35_24 Depth=1
	s_or_b32 exec_lo, exec_lo, s0
	v_mul_hi_u32 v1, s14, v11
	v_cmp_eq_u32_e32 vcc_lo, s18, v2
	s_delay_alu instid0(VALU_DEP_2) | instskip(NEXT) | instid1(VALU_DEP_1)
	v_add3_u32 v1, v7, v1, -2
	v_lshrrev_b32_e32 v1, s6, v1
	s_delay_alu instid0(VALU_DEP_1) | instskip(NEXT) | instid1(VALU_DEP_1)
	v_cmp_gt_i32_e64 s0, s22, v1
	s_and_b32 s12, vcc_lo, s0
	s_delay_alu instid0(SALU_CYCLE_1)
	s_and_saveexec_b32 s0, s12
	s_cbranch_execz .LBB35_52
; %bb.51:                               ;   in Loop: Header=BB35_24 Depth=1
	v_mad_u64_u32 v[24:25], null, s4, v1, v[7:8]
	s_delay_alu instid0(VALU_DEP_1)
	v_add_nc_u16 v2, v24, -1
	global_store_b8 v1, v2, s[8:9]
.LBB35_52:                              ;   in Loop: Header=BB35_24 Depth=1
	s_or_b32 exec_lo, exec_lo, s0
	v_mul_hi_u32 v1, s14, v6
	v_cmp_eq_u32_e32 vcc_lo, s18, v3
	s_delay_alu instid0(VALU_DEP_2) | instskip(NEXT) | instid1(VALU_DEP_1)
	v_add3_u32 v1, v7, v1, -1
	v_lshrrev_b32_e32 v1, s6, v1
	s_delay_alu instid0(VALU_DEP_1) | instskip(NEXT) | instid1(VALU_DEP_1)
	v_cmp_gt_i32_e64 s0, s22, v1
	s_and_b32 s12, vcc_lo, s0
	s_delay_alu instid0(SALU_CYCLE_1)
	s_and_saveexec_b32 s0, s12
	s_cbranch_execz .LBB35_54
; %bb.53:                               ;   in Loop: Header=BB35_24 Depth=1
	v_mad_u64_u32 v[2:3], null, s4, v1, v[7:8]
	global_store_b8 v1, v2, s[8:9]
.LBB35_54:                              ;   in Loop: Header=BB35_24 Depth=1
	s_or_b32 exec_lo, exec_lo, s0
	v_mul_hi_u32 v1, s14, v7
	v_cmp_eq_u32_e32 vcc_lo, s18, v4
	s_delay_alu instid0(VALU_DEP_2) | instskip(NEXT) | instid1(VALU_DEP_1)
	v_add_nc_u32_e32 v1, v7, v1
	v_lshrrev_b32_e32 v1, s6, v1
	s_delay_alu instid0(VALU_DEP_1) | instskip(NEXT) | instid1(VALU_DEP_1)
	v_cmp_gt_i32_e64 s0, s22, v1
	s_and_b32 s12, vcc_lo, s0
	s_delay_alu instid0(SALU_CYCLE_1)
	s_and_saveexec_b32 s0, s12
	s_cbranch_execz .LBB35_23
; %bb.55:                               ;   in Loop: Header=BB35_24 Depth=1
	v_mad_u64_u32 v[2:3], null, s4, v1, v[7:8]
	s_delay_alu instid0(VALU_DEP_1)
	v_add_nc_u16 v2, v2, 1
	global_store_b8 v1, v2, s[8:9]
	s_branch .LBB35_23
.LBB35_56:
	s_or_b32 exec_lo, exec_lo, s25
	s_ashr_i32 s0, s23, 5
	s_cmp_eq_u32 s19, 0
	s_waitcnt_vscnt null, 0x0
	s_barrier
	buffer_gl0_inv
	s_cbranch_scc1 .LBB35_67
; %bb.57:
	s_cmp_lt_i32 s22, 1
	s_cbranch_scc1 .LBB35_62
; %bb.58:
	s_lshl_b32 s0, s0, 3
	v_mbcnt_lo_u32_b32 v1, -1, 0
	s_add_i32 s4, s0, 0x1ff
	v_mov_b32_e32 v3, 0
	s_ashr_i32 s5, s4, 31
	v_mov_b32_e32 v9, v0
	v_lshlrev_b32_e32 v1, 2, v1
	s_lshr_b32 s5, s5, 23
	s_delay_alu instid0(SALU_CYCLE_1) | instskip(NEXT) | instid1(SALU_CYCLE_1)
	s_add_i32 s4, s4, s5
	s_ashr_i32 s4, s4, 9
	s_delay_alu instid0(VALU_DEP_1)
	v_xor_b32_e32 v4, 4, v1
	v_xor_b32_e32 v5, 8, v1
	;; [unrolled: 1-line block ×5, first 2 shown]
	v_lshlrev_b32_e32 v1, 2, v0
	s_max_i32 s4, s4, 1
	s_add_u32 s1, s16, s1
	s_addc_u32 s5, s17, s7
	s_delay_alu instid0(VALU_DEP_1) | instskip(NEXT) | instid1(VALU_DEP_1)
	v_add_co_u32 v1, s1, s1, v1
	v_add_co_ci_u32_e64 v2, null, s5, 0, s1
	s_branch .LBB35_60
.LBB35_59:                              ;   in Loop: Header=BB35_60 Depth=1
	s_or_b32 exec_lo, exec_lo, s1
	s_waitcnt vmcnt(0)
	v_lshrrev_b32_e32 v11, 8, v10
	v_lshrrev_b32_e32 v12, 16, v10
	v_and_b32_e32 v13, 0xff, v10
	v_lshrrev_b32_e32 v10, 24, v10
	v_add_nc_u32_e32 v9, 0x200, v9
	v_and_b32_e32 v11, 0xff, v11
	v_and_b32_e32 v12, 0xff, v12
	s_add_i32 s4, s4, -1
	s_delay_alu instid0(SALU_CYCLE_1) | instskip(NEXT) | instid1(VALU_DEP_2)
	s_cmp_eq_u32 s4, 0
	v_cmp_ne_u16_e32 vcc_lo, 0, v11
	v_cndmask_b32_e64 v11, 0, 1, vcc_lo
	v_cmp_ne_u16_e32 vcc_lo, 0, v12
	v_cndmask_b32_e64 v12, 0, 1, vcc_lo
	v_cmp_ne_u16_e32 vcc_lo, 0, v13
	s_delay_alu instid0(VALU_DEP_4) | instskip(SKIP_1) | instid1(VALU_DEP_2)
	v_add_co_ci_u32_e32 v11, vcc_lo, 0, v11, vcc_lo
	v_cmp_ne_u16_e32 vcc_lo, 0, v10
	v_add_co_ci_u32_e32 v10, vcc_lo, v11, v12, vcc_lo
	v_add_co_u32 v1, vcc_lo, 0x800, v1
	v_add_co_ci_u32_e32 v2, vcc_lo, 0, v2, vcc_lo
	ds_bpermute_b32 v11, v4, v10
	s_waitcnt lgkmcnt(0)
	v_add_nc_u32_e32 v10, v10, v11
	ds_bpermute_b32 v11, v5, v10
	s_waitcnt lgkmcnt(0)
	v_add_nc_u32_e32 v10, v10, v11
	;; [unrolled: 3-line block ×4, first 2 shown]
	ds_bpermute_b32 v11, v8, v10
	s_waitcnt lgkmcnt(0)
	v_add3_u32 v3, v11, v3, v10
	s_cbranch_scc1 .LBB35_63
.LBB35_60:                              ; =>This Inner Loop Header: Depth=1
	v_mov_b32_e32 v10, 0
	s_mov_b32 s1, exec_lo
	v_cmpx_gt_i32_e64 s0, v9
	s_cbranch_execz .LBB35_59
; %bb.61:                               ;   in Loop: Header=BB35_60 Depth=1
	global_load_b32 v10, v[1:2], off
	s_branch .LBB35_59
.LBB35_62:
	v_mov_b32_e32 v3, 0
.LBB35_63:
	v_and_b32_e32 v1, 31, v0
	s_mov_b32 s0, exec_lo
	s_delay_alu instid0(VALU_DEP_1)
	v_cmpx_eq_u32_e32 0, v1
	s_cbranch_execz .LBB35_65
; %bb.64:
	v_lshrrev_b32_e32 v1, 3, v0
	s_delay_alu instid0(VALU_DEP_1)
	v_and_b32_e32 v1, 0x7c, v1
	ds_store_b32 v1, v3
.LBB35_65:
	s_or_b32 exec_lo, exec_lo, s0
	s_waitcnt lgkmcnt(0)
	s_barrier
	buffer_gl0_inv
	s_mov_b32 s0, exec_lo
	v_cmpx_eq_u32_e32 0, v0
	s_cbranch_execz .LBB35_67
; %bb.66:
	v_mov_b32_e32 v8, 0
	s_add_u32 s0, s10, s2
	s_addc_u32 s1, s11, s3
	ds_load_b128 v[0:3], v8
	ds_load_b128 v[4:7], v8 offset:16
	s_waitcnt lgkmcnt(1)
	v_add_nc_u32_e32 v0, v1, v0
	s_delay_alu instid0(VALU_DEP_1) | instskip(NEXT) | instid1(VALU_DEP_1)
	v_add_nc_u32_e32 v0, v0, v2
	v_add_nc_u32_e32 v0, v0, v3
	s_waitcnt lgkmcnt(0)
	s_delay_alu instid0(VALU_DEP_1) | instskip(NEXT) | instid1(VALU_DEP_1)
	v_add_nc_u32_e32 v4, v0, v4
	v_add_nc_u32_e32 v4, v4, v5
	s_delay_alu instid0(VALU_DEP_1) | instskip(NEXT) | instid1(VALU_DEP_1)
	v_add_nc_u32_e32 v4, v4, v6
	v_add_nc_u32_e32 v9, v4, v7
	ds_load_b128 v[0:3], v8 offset:32
	ds_load_b128 v[4:7], v8 offset:48
	s_waitcnt lgkmcnt(1)
	v_add_nc_u32_e32 v0, v9, v0
	s_delay_alu instid0(VALU_DEP_1) | instskip(NEXT) | instid1(VALU_DEP_1)
	v_add_nc_u32_e32 v0, v0, v1
	v_add_nc_u32_e32 v0, v0, v2
	s_delay_alu instid0(VALU_DEP_1) | instskip(SKIP_1) | instid1(VALU_DEP_1)
	v_add_nc_u32_e32 v0, v0, v3
	s_waitcnt lgkmcnt(0)
	v_add_nc_u32_e32 v0, v0, v4
	s_delay_alu instid0(VALU_DEP_1) | instskip(NEXT) | instid1(VALU_DEP_1)
	v_add_nc_u32_e32 v0, v0, v5
	v_add_nc_u32_e32 v0, v0, v6
	s_delay_alu instid0(VALU_DEP_1)
	v_add_nc_u32_e32 v0, v0, v7
	global_store_b32 v8, v0, s[0:1]
.LBB35_67:
	s_nop 0
	s_sendmsg sendmsg(MSG_DEALLOC_VGPRS)
	s_endpgm
	.section	.rodata,"a",@progbits
	.p2align	6, 0x0
	.amdhsa_kernel _ZN5aiter22opus_moe_sorting_entryINS_32MoeSortingMultiPhaseKernel_P0_v2INS_19MoeSortingProblemMpIifhLi4ELb1ELb1ELb1EEEEENS4_5KargsEEEvT0_
		.amdhsa_group_segment_fixed_size 64
		.amdhsa_private_segment_fixed_size 0
		.amdhsa_kernarg_size 72
		.amdhsa_user_sgpr_count 15
		.amdhsa_user_sgpr_dispatch_ptr 0
		.amdhsa_user_sgpr_queue_ptr 0
		.amdhsa_user_sgpr_kernarg_segment_ptr 1
		.amdhsa_user_sgpr_dispatch_id 0
		.amdhsa_user_sgpr_private_segment_size 0
		.amdhsa_wavefront_size32 1
		.amdhsa_uses_dynamic_stack 0
		.amdhsa_enable_private_segment 0
		.amdhsa_system_sgpr_workgroup_id_x 1
		.amdhsa_system_sgpr_workgroup_id_y 0
		.amdhsa_system_sgpr_workgroup_id_z 0
		.amdhsa_system_sgpr_workgroup_info 0
		.amdhsa_system_vgpr_workitem_id 0
		.amdhsa_next_free_vgpr 27
		.amdhsa_next_free_sgpr 29
		.amdhsa_reserve_vcc 1
		.amdhsa_float_round_mode_32 0
		.amdhsa_float_round_mode_16_64 0
		.amdhsa_float_denorm_mode_32 3
		.amdhsa_float_denorm_mode_16_64 3
		.amdhsa_dx10_clamp 1
		.amdhsa_ieee_mode 1
		.amdhsa_fp16_overflow 0
		.amdhsa_workgroup_processor_mode 1
		.amdhsa_memory_ordered 1
		.amdhsa_forward_progress 0
		.amdhsa_shared_vgpr_count 0
		.amdhsa_exception_fp_ieee_invalid_op 0
		.amdhsa_exception_fp_denorm_src 0
		.amdhsa_exception_fp_ieee_div_zero 0
		.amdhsa_exception_fp_ieee_overflow 0
		.amdhsa_exception_fp_ieee_underflow 0
		.amdhsa_exception_fp_ieee_inexact 0
		.amdhsa_exception_int_div_zero 0
	.end_amdhsa_kernel
	.section	.text._ZN5aiter22opus_moe_sorting_entryINS_32MoeSortingMultiPhaseKernel_P0_v2INS_19MoeSortingProblemMpIifhLi4ELb1ELb1ELb1EEEEENS4_5KargsEEEvT0_,"axG",@progbits,_ZN5aiter22opus_moe_sorting_entryINS_32MoeSortingMultiPhaseKernel_P0_v2INS_19MoeSortingProblemMpIifhLi4ELb1ELb1ELb1EEEEENS4_5KargsEEEvT0_,comdat
.Lfunc_end35:
	.size	_ZN5aiter22opus_moe_sorting_entryINS_32MoeSortingMultiPhaseKernel_P0_v2INS_19MoeSortingProblemMpIifhLi4ELb1ELb1ELb1EEEEENS4_5KargsEEEvT0_, .Lfunc_end35-_ZN5aiter22opus_moe_sorting_entryINS_32MoeSortingMultiPhaseKernel_P0_v2INS_19MoeSortingProblemMpIifhLi4ELb1ELb1ELb1EEEEENS4_5KargsEEEvT0_
                                        ; -- End function
	.section	.AMDGPU.csdata,"",@progbits
; Kernel info:
; codeLenInByte = 3820
; NumSgprs: 31
; NumVgprs: 27
; ScratchSize: 0
; MemoryBound: 0
; FloatMode: 240
; IeeeMode: 1
; LDSByteSize: 64 bytes/workgroup (compile time only)
; SGPRBlocks: 3
; VGPRBlocks: 3
; NumSGPRsForWavesPerEU: 31
; NumVGPRsForWavesPerEU: 27
; Occupancy: 16
; WaveLimiterHint : 1
; COMPUTE_PGM_RSRC2:SCRATCH_EN: 0
; COMPUTE_PGM_RSRC2:USER_SGPR: 15
; COMPUTE_PGM_RSRC2:TRAP_HANDLER: 0
; COMPUTE_PGM_RSRC2:TGID_X_EN: 1
; COMPUTE_PGM_RSRC2:TGID_Y_EN: 0
; COMPUTE_PGM_RSRC2:TGID_Z_EN: 0
; COMPUTE_PGM_RSRC2:TIDIG_COMP_CNT: 0
	.section	.text._ZN5aiter22opus_moe_sorting_entryINS_30MoeSortingMultiPhaseKernel_P23INS_19MoeSortingProblemMpIifhLi16ELb1ELb1ELb1EEEEENS4_5KargsEEEvT0_,"axG",@progbits,_ZN5aiter22opus_moe_sorting_entryINS_30MoeSortingMultiPhaseKernel_P23INS_19MoeSortingProblemMpIifhLi16ELb1ELb1ELb1EEEEENS4_5KargsEEEvT0_,comdat
	.protected	_ZN5aiter22opus_moe_sorting_entryINS_30MoeSortingMultiPhaseKernel_P23INS_19MoeSortingProblemMpIifhLi16ELb1ELb1ELb1EEEEENS4_5KargsEEEvT0_ ; -- Begin function _ZN5aiter22opus_moe_sorting_entryINS_30MoeSortingMultiPhaseKernel_P23INS_19MoeSortingProblemMpIifhLi16ELb1ELb1ELb1EEEEENS4_5KargsEEEvT0_
	.globl	_ZN5aiter22opus_moe_sorting_entryINS_30MoeSortingMultiPhaseKernel_P23INS_19MoeSortingProblemMpIifhLi16ELb1ELb1ELb1EEEEENS4_5KargsEEEvT0_
	.p2align	8
	.type	_ZN5aiter22opus_moe_sorting_entryINS_30MoeSortingMultiPhaseKernel_P23INS_19MoeSortingProblemMpIifhLi16ELb1ELb1ELb1EEEEENS4_5KargsEEEvT0_,@function
_ZN5aiter22opus_moe_sorting_entryINS_30MoeSortingMultiPhaseKernel_P23INS_19MoeSortingProblemMpIifhLi16ELb1ELb1ELb1EEEEENS4_5KargsEEEvT0_: ; @_ZN5aiter22opus_moe_sorting_entryINS_30MoeSortingMultiPhaseKernel_P23INS_19MoeSortingProblemMpIifhLi16ELb1ELb1ELb1EEEEENS4_5KargsEEEvT0_
; %bb.0:
	s_clause 0x2
	s_load_b512 s[36:51], s[0:1], 0x0
	s_load_b32 s11, s[0:1], 0x64
	s_load_b256 s[52:59], s[0:1], 0x40
	s_mov_b32 s12, s15
	s_mov_b32 s3, -1
	s_waitcnt lgkmcnt(0)
	s_load_b32 s30, s[42:43], 0x0
	s_cmp_lt_i32 s15, s11
	s_cbranch_scc1 .LBB36_5
; %bb.1:
	s_load_b64 s[2:3], s[0:1], 0x84
	v_mov_b32_e32 v2, 0
	s_mov_b32 s10, exec_lo
	s_waitcnt lgkmcnt(0)
	s_ashr_i32 s4, s2, 31
	s_mul_i32 s5, s3, s30
	s_mul_hi_i32 s3, s3, s30
	s_mul_i32 s4, s5, s4
	s_mul_hi_u32 s6, s5, s2
	s_mul_i32 s3, s3, s2
	s_add_i32 s4, s6, s4
	s_mul_i32 s5, s5, s2
	s_add_i32 s4, s4, s3
	s_sub_i32 s3, s12, s11
	s_ashr_i32 s6, s4, 31
	v_lshl_add_u32 v1, s3, 8, v0
	s_lshr_b32 s2, s6, 28
	s_delay_alu instid0(SALU_CYCLE_1) | instskip(SKIP_1) | instid1(SALU_CYCLE_1)
	s_add_u32 s2, s5, s2
	s_addc_u32 s3, s4, 0
	s_ashr_i64 s[4:5], s[2:3], 4
	s_mov_b32 s3, 0
	v_cmpx_gt_i64_e64 s[4:5], v[1:2]
	s_cbranch_execz .LBB36_4
; %bb.2:
	s_load_b32 s2, s[0:1], 0x90
	v_lshlrev_b64 v[7:8], 4, v[1:2]
	v_dual_mov_b32 v6, v2 :: v_dual_mov_b32 v5, v1
	v_mov_b32_e32 v1, v2
	v_mov_b32_e32 v3, v2
	;; [unrolled: 1-line block ×3, first 2 shown]
	v_add_co_u32 v7, vcc_lo, s56, v7
	v_add_co_ci_u32_e32 v8, vcc_lo, s57, v8, vcc_lo
	s_mov_b32 s13, 0
	s_waitcnt lgkmcnt(0)
	s_sub_i32 s2, s2, s11
	s_delay_alu instid0(SALU_CYCLE_1) | instskip(NEXT) | instid1(SALU_CYCLE_1)
	s_lshl_b32 s6, s2, 8
	s_ashr_i32 s7, s6, 31
	s_delay_alu instid0(SALU_CYCLE_1)
	s_lshl_b64 s[8:9], s[6:7], 4
.LBB36_3:                               ; =>This Inner Loop Header: Depth=1
	v_add_co_u32 v5, vcc_lo, v5, s6
	v_add_co_ci_u32_e32 v6, vcc_lo, s7, v6, vcc_lo
	global_store_b128 v[7:8], v[1:4], off
	v_add_co_u32 v7, s2, v7, s8
	v_cmp_le_i64_e32 vcc_lo, s[4:5], v[5:6]
	v_add_co_ci_u32_e64 v8, s2, s9, v8, s2
	s_or_b32 s13, vcc_lo, s13
	s_delay_alu instid0(SALU_CYCLE_1)
	s_and_not1_b32 exec_lo, exec_lo, s13
	s_cbranch_execnz .LBB36_3
.LBB36_4:
	s_or_b32 exec_lo, exec_lo, s10
.LBB36_5:
	s_delay_alu instid0(SALU_CYCLE_1)
	s_and_not1_b32 vcc_lo, exec_lo, s3
	s_cbranch_vccnz .LBB36_80
; %bb.6:
	s_load_b128 s[24:27], s[0:1], 0x6c
	s_lshl_b32 s0, s11, 2
	v_lshrrev_b32_e32 v7, 5, v0
	s_add_i32 s13, s0, 0
	v_and_b32_e32 v8, 31, v0
	s_addk_i32 s13, 0x50
	s_cmp_lt_i32 s11, 1
	s_mov_b32 s14, 0
	s_cbranch_scc1 .LBB36_22
; %bb.7:
	v_mbcnt_lo_u32_b32 v1, -1, 0
	s_add_i32 s7, s11, 0xff
	s_waitcnt lgkmcnt(0)
	s_add_i32 s15, s24, -1
	s_lshr_b32 s16, s7, 8
	s_cmp_lg_u64 s[58:59], 0
	v_dual_mov_b32 v9, 0 :: v_dual_lshlrev_b32 v2, 2, v1
	v_cmp_eq_u32_e64 s0, 31, v8
	v_lshl_add_u32 v5, v7, 2, 0
	v_cmp_gt_u32_e64 s1, 32, v0
	s_delay_alu instid0(VALU_DEP_4)
	v_and_b32_e32 v2, 64, v2
	v_cmp_lt_u32_e64 s2, 63, v0
	v_cmp_lt_u32_e64 s3, 0x5f, v0
	;; [unrolled: 1-line block ×6, first 2 shown]
	v_add_nc_u32_e32 v6, -4, v2
	v_cmp_lt_u32_e64 s8, 0xdf, v0
	v_cmp_eq_u32_e64 s9, 0xff, v0
	v_mov_b32_e32 v10, 0
	v_mov_b32_e32 v2, 0
	s_cselect_b32 s17, -1, 0
	s_cmp_eq_u32 s12, 0
	s_mov_b32 s18, s25
	s_cselect_b32 s19, -1, 0
	s_add_i32 s20, s13, 4
.LBB36_8:                               ; =>This Loop Header: Depth=1
                                        ;     Child Loop BB36_19 Depth 2
	v_lshl_add_u32 v3, s14, 8, v0
	v_dual_mov_b32 v4, 0 :: v_dual_mov_b32 v1, 0
	s_delay_alu instid0(VALU_DEP_2)
	v_cmp_gt_i32_e32 vcc_lo, s11, v3
	s_and_saveexec_b32 s21, vcc_lo
	s_cbranch_execz .LBB36_10
; %bb.9:                                ;   in Loop: Header=BB36_8 Depth=1
	v_ashrrev_i32_e32 v4, 31, v3
	s_delay_alu instid0(VALU_DEP_1) | instskip(NEXT) | instid1(VALU_DEP_1)
	v_lshlrev_b64 v[11:12], 2, v[3:4]
	v_add_co_u32 v13, s10, s46, v11
	s_delay_alu instid0(VALU_DEP_1) | instskip(SKIP_1) | instid1(VALU_DEP_1)
	v_add_co_ci_u32_e64 v14, s10, s47, v12, s10
	v_add_co_u32 v11, s10, s40, v11
	v_add_co_ci_u32_e64 v12, s10, s41, v12, s10
	global_load_b32 v1, v[13:14], off
	global_load_b32 v4, v[11:12], off
.LBB36_10:                              ;   in Loop: Header=BB36_8 Depth=1
	s_or_b32 exec_lo, exec_lo, s21
	s_waitcnt vmcnt(1)
	v_add_nc_u32_e32 v1, s15, v1
	s_waitcnt vmcnt(0)
	v_cmp_eq_u32_e64 s10, 0, v4
	v_add_nc_u32_dpp v15, v4, v4 row_shr:1 row_mask:0xf bank_mask:0xf bound_ctrl:1
	s_waitcnt_vscnt null, 0x0
	s_barrier
	v_mul_hi_u32 v11, v1, s18
	buffer_gl0_inv
	v_add_nc_u32_dpp v16, v15, v15 row_shr:2 row_mask:0xf bank_mask:0xf bound_ctrl:1
	s_delay_alu instid0(VALU_DEP_1) | instskip(SKIP_1) | instid1(VALU_DEP_2)
	v_add_nc_u32_dpp v16, v16, v16 row_shr:4 row_mask:0xf bank_mask:0xf bound_ctrl:1
	v_add_nc_u32_e32 v1, v1, v11
	v_add_nc_u32_dpp v18, v16, v16 row_shr:8 row_mask:0xf bank_mask:0xf bound_ctrl:1
	s_delay_alu instid0(VALU_DEP_2) | instskip(SKIP_2) | instid1(VALU_DEP_1)
	v_lshrrev_b32_e32 v11, s26, v1
	ds_bpermute_b32 v19, v6, v18
	v_cndmask_b32_e64 v17, v11, 0, s10
	v_mov_b32_dpp v12, v17 row_shr:1 row_mask:0xf bank_mask:0xf bound_ctrl:1
	s_delay_alu instid0(VALU_DEP_1) | instskip(NEXT) | instid1(VALU_DEP_1)
	v_add_nc_u32_e32 v1, v17, v12
	v_mov_b32_dpp v13, v1 row_shr:2 row_mask:0xf bank_mask:0xf bound_ctrl:1
	s_waitcnt lgkmcnt(0)
	v_cndmask_b32_e64 v19, 0, v19, s7
	s_delay_alu instid0(VALU_DEP_2) | instskip(NEXT) | instid1(VALU_DEP_1)
	v_add_nc_u32_e32 v1, v1, v13
	v_mov_b32_dpp v14, v1 row_shr:4 row_mask:0xf bank_mask:0xf bound_ctrl:1
	s_delay_alu instid0(VALU_DEP_1) | instskip(NEXT) | instid1(VALU_DEP_1)
	v_add_nc_u32_e32 v1, v1, v14
	v_mov_b32_dpp v15, v1 row_shr:8 row_mask:0xf bank_mask:0xf bound_ctrl:1
	s_delay_alu instid0(VALU_DEP_1) | instskip(SKIP_3) | instid1(VALU_DEP_1)
	v_add_nc_u32_e32 v1, v1, v15
	ds_bpermute_b32 v16, v6, v1
	s_waitcnt lgkmcnt(0)
	v_cndmask_b32_e64 v16, 0, v16, s7
	v_add_nc_u32_e32 v20, v1, v16
	v_add_nc_u32_e32 v1, v19, v18
	s_and_saveexec_b32 s21, s0
	s_cbranch_execz .LBB36_12
; %bb.11:                               ;   in Loop: Header=BB36_8 Depth=1
	ds_store_2addr_b32 v5, v20, v1 offset0:4 offset1:12
.LBB36_12:                              ;   in Loop: Header=BB36_8 Depth=1
	s_or_b32 exec_lo, exec_lo, s21
	s_waitcnt lgkmcnt(0)
	s_barrier
	buffer_gl0_inv
	ds_load_2addr_b32 v[18:19], v9 offset0:4 offset1:5
	ds_load_2addr_b32 v[21:22], v9 offset0:12 offset1:13
	;; [unrolled: 1-line block ×7, first 2 shown]
	s_waitcnt lgkmcnt(6)
	v_cndmask_b32_e64 v18, v18, 0, s1
	s_waitcnt lgkmcnt(5)
	v_cndmask_b32_e64 v33, v21, 0, s1
	v_cndmask_b32_e64 v19, 0, v19, s2
	;; [unrolled: 1-line block ×3, first 2 shown]
	s_waitcnt lgkmcnt(4)
	v_cndmask_b32_e64 v21, 0, v23, s3
	s_waitcnt lgkmcnt(3)
	v_cndmask_b32_e64 v25, 0, v25, s3
	v_add3_u32 v20, v20, v10, v18
	v_add3_u32 v1, v1, v2, v33
	v_cndmask_b32_e64 v22, 0, v24, s4
	v_cndmask_b32_e64 v26, 0, v26, s4
	s_waitcnt lgkmcnt(2)
	v_cndmask_b32_e64 v23, 0, v27, s5
	s_waitcnt lgkmcnt(1)
	v_cndmask_b32_e64 v2, 0, v29, s5
	v_add3_u32 v20, v20, v19, v21
	v_add3_u32 v1, v1, v34, v25
	v_cndmask_b32_e64 v24, 0, v28, s6
	v_cndmask_b32_e64 v27, 0, v30, s6
	s_waitcnt lgkmcnt(0)
	v_cndmask_b32_e64 v25, 0, v31, s8
	v_cndmask_b32_e64 v28, 0, v32, s8
	v_add3_u32 v20, v20, v22, v23
	v_add3_u32 v1, v1, v26, v2
	s_delay_alu instid0(VALU_DEP_2) | instskip(NEXT) | instid1(VALU_DEP_2)
	v_add3_u32 v26, v20, v24, v25
	v_add3_u32 v20, v1, v27, v28
	s_and_saveexec_b32 s21, s9
	s_cbranch_execz .LBB36_14
; %bb.13:                               ;   in Loop: Header=BB36_8 Depth=1
	ds_store_2addr_b32 v9, v26, v20 offset0:2 offset1:3
.LBB36_14:                              ;   in Loop: Header=BB36_8 Depth=1
	s_or_b32 exec_lo, exec_lo, s21
	s_waitcnt lgkmcnt(0)
	s_barrier
	buffer_gl0_inv
	ds_load_2addr_b32 v[1:2], v9 offset0:2 offset1:3
	v_sub_nc_u32_e32 v20, v20, v4
	s_and_saveexec_b32 s21, vcc_lo
	s_cbranch_execz .LBB36_17
; %bb.15:                               ;   in Loop: Header=BB36_8 Depth=1
	v_sub_nc_u32_e32 v17, v26, v17
	v_lshl_add_u32 v26, v3, 2, 0
	s_and_not1_b32 vcc_lo, exec_lo, s17
	s_delay_alu instid0(VALU_DEP_2)
	v_mul_lo_u32 v17, v17, s24
	ds_store_b32 v26, v17 offset:80
	s_cbranch_vccnz .LBB36_17
; %bb.16:                               ;   in Loop: Header=BB36_8 Depth=1
	v_cndmask_b32_e64 v17, v20, -1, s10
	v_lshl_add_u32 v3, v3, 2, s20
	ds_store_b32 v3, v17
.LBB36_17:                              ;   in Loop: Header=BB36_8 Depth=1
	s_or_b32 exec_lo, exec_lo, s21
	v_cmp_ne_u32_e32 vcc_lo, 0, v4
	v_cmp_lt_i32_e64 s10, 0, v11
	s_and_b32 s21, s19, vcc_lo
	s_delay_alu instid0(VALU_DEP_1) | instid1(SALU_CYCLE_1)
	s_and_b32 s10, s21, s10
	s_delay_alu instid0(SALU_CYCLE_1)
	s_and_saveexec_b32 s21, s10
	s_cbranch_execz .LBB36_20
; %bb.18:                               ;   in Loop: Header=BB36_8 Depth=1
	v_add3_u32 v3, v16, v19, v21
	s_mov_b32 s22, 0
	s_delay_alu instid0(VALU_DEP_1) | instskip(NEXT) | instid1(VALU_DEP_1)
	v_add3_u32 v3, v3, v22, v23
	v_add3_u32 v3, v3, v24, v25
	s_delay_alu instid0(VALU_DEP_1) | instskip(NEXT) | instid1(VALU_DEP_1)
	v_add3_u32 v3, v3, v18, v12
	v_add3_u32 v3, v3, v13, v14
	s_delay_alu instid0(VALU_DEP_1)
	v_add3_u32 v3, v3, v15, v10
.LBB36_19:                              ;   Parent Loop BB36_8 Depth=1
                                        ; =>  This Inner Loop Header: Depth=2
	s_delay_alu instid0(VALU_DEP_1) | instskip(SKIP_1) | instid1(VALU_DEP_2)
	v_ashrrev_i32_e32 v4, 31, v3
	v_add_nc_u32_e32 v11, -1, v11
	v_lshlrev_b64 v[12:13], 2, v[3:4]
	s_delay_alu instid0(VALU_DEP_2) | instskip(SKIP_2) | instid1(VALU_DEP_3)
	v_cmp_eq_u32_e32 vcc_lo, 0, v11
	v_add_nc_u32_e32 v3, 1, v3
	s_or_b32 s22, vcc_lo, s22
	v_add_co_u32 v12, s10, s50, v12
	s_delay_alu instid0(VALU_DEP_1)
	v_add_co_ci_u32_e64 v13, s10, s51, v13, s10
	global_store_b32 v[12:13], v20, off
	s_and_not1_b32 exec_lo, exec_lo, s22
	s_cbranch_execnz .LBB36_19
.LBB36_20:                              ;   in Loop: Header=BB36_8 Depth=1
	s_or_b32 exec_lo, exec_lo, s21
	s_add_i32 s14, s14, 1
	s_delay_alu instid0(SALU_CYCLE_1)
	s_cmp_eq_u32 s14, s16
	s_cbranch_scc1 .LBB36_23
; %bb.21:                               ;   in Loop: Header=BB36_8 Depth=1
	s_waitcnt lgkmcnt(0)
	v_mov_b32_e32 v10, v1
	s_branch .LBB36_8
.LBB36_22:
	v_mov_b32_e32 v1, 0
.LBB36_23:
	s_mov_b32 s0, exec_lo
	v_cmpx_eq_u32_e32 0, v0
	s_cbranch_execz .LBB36_27
; %bb.24:
	s_waitcnt lgkmcnt(0)
	v_mul_lo_u32 v1, v1, s24
	s_cmp_lg_u32 s12, 0
	s_cbranch_scc1 .LBB36_26
; %bb.25:
	v_dual_mov_b32 v3, 0 :: v_dual_mov_b32 v2, s30
	global_store_b64 v3, v[1:2], s[48:49]
.LBB36_26:
	v_mov_b32_e32 v2, s13
	ds_store_b32 v2, v1
.LBB36_27:
	s_or_b32 exec_lo, exec_lo, s0
	s_cmp_eq_u64 s[58:59], 0
	s_waitcnt lgkmcnt(0)
	s_waitcnt_vscnt null, 0x0
	s_cselect_b32 s0, -1, 0
	s_cmp_lg_u32 s12, 0
	s_barrier
	s_cselect_b32 s1, -1, 0
	buffer_gl0_inv
	s_or_b32 s0, s1, s0
	s_delay_alu instid0(SALU_CYCLE_1)
	s_and_b32 vcc_lo, exec_lo, s0
	s_cbranch_vccnz .LBB36_34
; %bb.28:
	s_mul_i32 s1, s30, s27
	s_mov_b32 s2, exec_lo
	v_cmpx_gt_i32_e64 s1, v0
	s_cbranch_execz .LBB36_33
; %bb.29:
	v_lshlrev_b32_e32 v3, 2, v0
	v_mov_b32_e32 v5, v0
	s_add_i32 s13, s13, 4
	s_mov_b32 s3, 0
	s_delay_alu instid0(VALU_DEP_2) | instskip(NEXT) | instid1(VALU_DEP_1)
	v_add_co_u32 v1, s0, s36, v3
	v_add_co_ci_u32_e64 v2, null, s37, 0, s0
	v_add_co_u32 v3, s0, s58, v3
	s_delay_alu instid0(VALU_DEP_1)
	v_add_co_ci_u32_e64 v4, null, s59, 0, s0
	s_set_inst_prefetch_distance 0x1
	s_branch .LBB36_31
	.p2align	6
.LBB36_30:                              ;   in Loop: Header=BB36_31 Depth=1
	s_or_b32 exec_lo, exec_lo, s0
	v_add_nc_u32_e32 v5, 0x100, v5
	v_add_co_u32 v1, vcc_lo, 0x400, v1
	v_add_co_ci_u32_e32 v2, vcc_lo, 0, v2, vcc_lo
	s_waitcnt lgkmcnt(0)
	global_store_b32 v[3:4], v9, off
	v_cmp_le_i32_e32 vcc_lo, s1, v5
	v_add_co_u32 v3, s0, 0x400, v3
	s_delay_alu instid0(VALU_DEP_1) | instskip(SKIP_1) | instid1(SALU_CYCLE_1)
	v_add_co_ci_u32_e64 v4, s0, 0, v4, s0
	s_or_b32 s3, vcc_lo, s3
	s_and_not1_b32 exec_lo, exec_lo, s3
	s_cbranch_execz .LBB36_33
.LBB36_31:                              ; =>This Inner Loop Header: Depth=1
	global_load_b32 v6, v[1:2], off
	v_mov_b32_e32 v9, -1
	s_waitcnt vmcnt(0)
	v_cmp_lt_i32_e32 vcc_lo, -1, v6
	v_cmp_gt_i32_e64 s0, s11, v6
	s_delay_alu instid0(VALU_DEP_1) | instskip(NEXT) | instid1(SALU_CYCLE_1)
	s_and_b32 s4, vcc_lo, s0
	s_and_saveexec_b32 s0, s4
	s_cbranch_execz .LBB36_30
; %bb.32:                               ;   in Loop: Header=BB36_31 Depth=1
	v_lshl_add_u32 v6, v6, 2, s13
	ds_load_b32 v9, v6
	s_branch .LBB36_30
.LBB36_33:
	s_set_inst_prefetch_distance 0x2
	s_or_b32 exec_lo, exec_lo, s2
.LBB36_34:
	s_lshl_b32 s0, s12, 2
	s_delay_alu instid0(SALU_CYCLE_1) | instskip(NEXT) | instid1(SALU_CYCLE_1)
	s_add_i32 s0, s0, 0
	v_mov_b32_e32 v1, s0
	ds_load_2addr_b32 v[5:6], v1 offset0:20 offset1:21
	s_waitcnt lgkmcnt(0)
	v_cmp_eq_u32_e32 vcc_lo, v5, v6
	s_cbranch_vccnz .LBB36_80
; %bb.35:
	s_ashr_i32 s13, s12, 31
	v_mov_b32_e32 v33, 0
	s_lshl_b64 s[0:1], s[12:13], 2
	s_delay_alu instid0(SALU_CYCLE_1)
	s_add_u32 s0, s40, s0
	s_addc_u32 s1, s41, s1
	global_load_b32 v1, v33, s[0:1]
	s_waitcnt vmcnt(0)
	v_cmp_eq_u32_e32 vcc_lo, 0, v1
	s_cbranch_vccnz .LBB36_80
; %bb.36:
	s_cmp_lt_i32 s30, 1
	s_cbranch_scc1 .LBB36_77
; %bb.37:
	v_mbcnt_lo_u32_b32 v1, -1, 0
	v_lshlrev_b32_e32 v29, 4, v0
	s_add_i32 s0, s30, 31
	s_add_i32 s1, s30, 15
	s_lshr_b32 s0, s0, 5
	v_dual_mov_b32 v9, 0 :: v_dual_lshlrev_b32 v2, 2, v1
	s_lshr_b32 s26, s1, 4
	s_lshl_b32 s1, s0, 1
	s_mul_i32 s0, s12, s0
	s_delay_alu instid0(VALU_DEP_1) | instskip(SKIP_3) | instid1(VALU_DEP_3)
	v_dual_mov_b32 v33, 0 :: v_dual_and_b32 v2, 64, v2
	v_cmp_lt_u32_e32 vcc_lo, 15, v1
	v_or_b32_e32 v1, 15, v29
	s_addk_i32 s1, 0xff
	v_dual_mov_b32 v32, v0 :: v_dual_add_nc_u32 v27, -4, v2
	v_or_b32_e32 v2, 14, v29
	s_lshl_b32 s0, s0, 5
	s_lshr_b32 s31, s1, 8
	s_ashr_i32 s1, s0, 31
	s_add_u32 s33, s44, s0
	v_cmp_eq_u32_e64 s0, 31, v8
	v_lshl_add_u32 v28, v7, 2, 0
	v_mad_u64_u32 v[7:8], null, s27, v1, -1
	v_or_b32_e32 v1, 13, v29
	v_mad_u64_u32 v[10:11], null, s27, v2, -1
	v_or_b32_e32 v2, 12, v29
	v_or_b32_e32 v3, 5, v29
	s_delay_alu instid0(VALU_DEP_4) | instskip(SKIP_1) | instid1(VALU_DEP_4)
	v_mad_u64_u32 v[11:12], null, s27, v1, -1
	v_or_b32_e32 v1, 11, v29
	v_mad_u64_u32 v[12:13], null, s27, v2, -1
	v_or_b32_e32 v2, 10, v29
	v_mul_lo_u32 v4, s27, v29
	s_delay_alu instid0(VALU_DEP_4) | instskip(SKIP_1) | instid1(VALU_DEP_4)
	v_mad_u64_u32 v[13:14], null, s27, v1, -1
	v_or_b32_e32 v1, 9, v29
	v_mad_u64_u32 v[14:15], null, s27, v2, -1
	v_or_b32_e32 v2, 8, v29
	v_mul_lo_u32 v8, v0, s27
	s_delay_alu instid0(VALU_DEP_4) | instskip(SKIP_1) | instid1(VALU_DEP_4)
	v_mad_u64_u32 v[15:16], null, s27, v1, -1
	v_or_b32_e32 v1, 7, v29
	v_mad_u64_u32 v[16:17], null, s27, v2, -1
	v_or_b32_e32 v2, 6, v29
	s_addc_u32 s34, s45, s1
	s_delay_alu instid0(VALU_DEP_3) | instskip(SKIP_1) | instid1(VALU_DEP_3)
	v_mad_u64_u32 v[17:18], null, s27, v1, -1
	v_or_b32_e32 v1, 4, v29
	v_mad_u64_u32 v[18:19], null, s27, v2, -1
	v_or_b32_e32 v2, 3, v29
	;; [unrolled: 2-line block ×3, first 2 shown]
	v_mad_u64_u32 v[20:21], null, s27, v1, -1
	s_delay_alu instid0(VALU_DEP_4) | instskip(NEXT) | instid1(VALU_DEP_3)
	v_mad_u64_u32 v[21:22], null, s27, v2, -1
	v_mad_u64_u32 v[22:23], null, s27, v3, -1
	v_cmp_gt_u32_e64 s1, 32, v0
	v_cmp_lt_u32_e64 s2, 63, v0
	v_cmp_lt_u32_e64 s3, 0x5f, v0
	;; [unrolled: 1-line block ×6, first 2 shown]
	v_cmp_eq_u32_e64 s8, 0xff, v0
	v_add3_u32 v30, v4, s27, -1
	v_lshl_add_u32 v31, v8, 4, -1
	s_mov_b32 s35, 0
	s_lshl_b32 s36, s27, 12
	s_mov_b64 s[28:29], 0
	s_branch .LBB36_39
.LBB36_38:                              ;   in Loop: Header=BB36_39 Depth=1
	s_or_b32 exec_lo, exec_lo, s10
	s_add_i32 s35, s35, s36
	s_add_u32 s28, s28, 0x1000
	s_addc_u32 s29, s29, 0
	s_add_i32 s31, s31, -1
	v_add_nc_u32_e32 v32, 0x100, v32
	s_add_u32 s33, s33, 0x1000
	s_addc_u32 s34, s34, 0
	s_cmp_eq_u32 s31, 0
	s_cbranch_scc1 .LBB36_77
.LBB36_39:                              ; =>This Inner Loop Header: Depth=1
	v_dual_mov_b32 v1, 0 :: v_dual_mov_b32 v2, 0
	v_dual_mov_b32 v3, 0 :: v_dual_mov_b32 v4, 0
	s_mov_b32 s10, exec_lo
	v_cmpx_gt_u32_e64 s26, v32
	s_cbranch_execz .LBB36_41
; %bb.40:                               ;   in Loop: Header=BB36_39 Depth=1
	v_add_co_u32 v1, s9, s33, v29
	s_delay_alu instid0(VALU_DEP_1)
	v_add_co_ci_u32_e64 v2, null, s34, 0, s9
	global_load_b128 v[1:4], v[1:2], off
.LBB36_41:                              ;   in Loop: Header=BB36_39 Depth=1
	s_or_b32 exec_lo, exec_lo, s10
	s_waitcnt vmcnt(0)
	v_lshrrev_b32_e32 v53, 8, v1
	v_lshrrev_b32_e32 v51, 16, v1
	v_lshrrev_b64 v[25:26], 24, v[1:2]
	v_and_b32_e32 v8, 0xff, v1
	v_lshrrev_b32_e32 v44, 16, v2
	v_and_b32_e32 v54, 0xff, v53
	v_and_b32_e32 v52, 0xff, v51
	v_lshrrev_b32_e32 v47, 8, v2
	v_and_b32_e32 v50, 0xff, v25
	v_cmp_ne_u16_e64 s24, 0, v8
	v_cmp_ne_u16_e64 s23, 0, v54
	;; [unrolled: 1-line block ×3, first 2 shown]
	v_and_b32_e32 v49, 0xff, v2
	v_and_b32_e32 v48, 0xff, v47
	v_cmp_ne_u16_e64 s21, 0, v50
	v_cndmask_b32_e64 v23, 0, 1, s23
	v_cndmask_b32_e64 v24, 0, 1, s22
	v_cmp_ne_u16_e64 s20, 0, v49
	v_and_b32_e32 v46, 0xff, v44
	v_cmp_ne_u16_e64 s19, 0, v48
	v_add_co_ci_u32_e64 v23, s9, 0, v23, s24
	v_lshrrev_b32_e32 v45, 24, v2
	s_delay_alu instid0(VALU_DEP_4) | instskip(SKIP_1) | instid1(VALU_DEP_4)
	v_cmp_ne_u16_e64 s18, 0, v46
	v_lshrrev_b32_e32 v41, 8, v3
	v_add_co_ci_u32_e64 v23, s9, v23, v24, s21
	v_cndmask_b32_e64 v24, 0, 1, s20
	v_cmp_ne_u16_e64 s17, 0, v45
	v_and_b32_e32 v43, 0xff, v3
	v_lshrrev_b32_e32 v39, 16, v3
	v_and_b32_e32 v42, 0xff, v41
	v_add_co_ci_u32_e64 v23, s9, v23, v24, s19
	v_cndmask_b32_e64 v24, 0, 1, s18
	v_cmp_ne_u16_e64 s16, 0, v43
	v_and_b32_e32 v40, 0xff, v39
	v_cmp_ne_u16_e64 s15, 0, v42
	v_lshrrev_b32_e32 v35, 8, v4
	v_add_co_ci_u32_e64 v26, s9, v23, v24, s17
	v_lshrrev_b64 v[23:24], 24, v[3:4]
	v_cndmask_b32_e64 v34, 0, 1, s16
	v_cmp_ne_u16_e64 s14, 0, v40
	v_and_b32_e32 v37, 0xff, v4
	v_lshrrev_b32_e32 v24, 16, v4
	v_and_b32_e32 v36, 0xff, v35
	v_and_b32_e32 v38, 0xff, v23
	v_add_co_ci_u32_e64 v26, s9, v26, v34, s15
	v_cndmask_b32_e64 v34, 0, 1, s14
	v_cmp_ne_u16_e64 s12, 0, v37
	s_delay_alu instid0(VALU_DEP_4)
	v_cmp_ne_u16_e64 s13, 0, v38
	v_cmp_ne_u16_e64 s11, 0, v36
	s_waitcnt_vscnt null, 0x0
	s_waitcnt lgkmcnt(0)
	s_barrier
	v_cndmask_b32_e64 v55, 0, 1, s12
	v_add_co_ci_u32_e64 v26, s9, v26, v34, s13
	v_and_b32_e32 v34, 0xff, v24
	buffer_gl0_inv
	v_add_co_ci_u32_e64 v55, s9, v26, v55, s11
	v_lshrrev_b32_e32 v26, 24, v4
	v_cmp_ne_u16_e64 s10, 0, v34
	s_delay_alu instid0(VALU_DEP_2) | instskip(NEXT) | instid1(VALU_DEP_2)
	v_cmp_ne_u16_e64 s9, 0, v26
	v_cndmask_b32_e64 v56, 0, 1, s10
	s_delay_alu instid0(VALU_DEP_1) | instskip(NEXT) | instid1(VALU_DEP_1)
	v_add_co_ci_u32_e64 v55, s25, v55, v56, s9
	v_add_nc_u32_dpp v56, v55, v55 row_shr:1 row_mask:0xf bank_mask:0xf bound_ctrl:1
	s_delay_alu instid0(VALU_DEP_1) | instskip(NEXT) | instid1(VALU_DEP_1)
	v_add_nc_u32_dpp v56, v56, v56 row_shr:2 row_mask:0xf bank_mask:0xf bound_ctrl:1
	v_add_nc_u32_dpp v56, v56, v56 row_shr:4 row_mask:0xf bank_mask:0xf bound_ctrl:1
	s_delay_alu instid0(VALU_DEP_1) | instskip(SKIP_3) | instid1(VALU_DEP_1)
	v_add_nc_u32_dpp v56, v56, v56 row_shr:8 row_mask:0xf bank_mask:0xf bound_ctrl:1
	ds_bpermute_b32 v57, v27, v56
	s_waitcnt lgkmcnt(0)
	v_cndmask_b32_e32 v57, 0, v57, vcc_lo
	v_add_nc_u32_e32 v56, v56, v57
	s_and_saveexec_b32 s25, s0
	s_cbranch_execz .LBB36_43
; %bb.42:                               ;   in Loop: Header=BB36_39 Depth=1
	ds_store_b32 v28, v56 offset:16
.LBB36_43:                              ;   in Loop: Header=BB36_39 Depth=1
	s_or_b32 exec_lo, exec_lo, s25
	s_waitcnt lgkmcnt(0)
	s_barrier
	buffer_gl0_inv
	ds_load_2addr_b32 v[57:58], v9 offset0:4 offset1:5
	ds_load_2addr_b32 v[59:60], v9 offset0:6 offset1:7
	;; [unrolled: 1-line block ×3, first 2 shown]
	ds_load_b32 v63, v9 offset:40
	s_waitcnt lgkmcnt(3)
	v_cndmask_b32_e64 v57, v57, 0, s1
	v_cndmask_b32_e64 v58, 0, v58, s2
	s_waitcnt lgkmcnt(2)
	v_cndmask_b32_e64 v59, 0, v59, s3
	s_delay_alu instid0(VALU_DEP_3) | instskip(SKIP_3) | instid1(VALU_DEP_3)
	v_add3_u32 v33, v56, v33, v57
	v_cndmask_b32_e64 v56, 0, v60, s4
	s_waitcnt lgkmcnt(1)
	v_cndmask_b32_e64 v57, 0, v61, s5
	v_add3_u32 v33, v33, v58, v59
	v_cndmask_b32_e64 v58, 0, v62, s6
	s_waitcnt lgkmcnt(0)
	v_cndmask_b32_e64 v59, 0, v63, s7
	s_delay_alu instid0(VALU_DEP_3) | instskip(NEXT) | instid1(VALU_DEP_1)
	v_add3_u32 v33, v33, v56, v57
	v_add3_u32 v56, v33, v58, v59
	s_and_saveexec_b32 s25, s8
	s_cbranch_execz .LBB36_45
; %bb.44:                               ;   in Loop: Header=BB36_39 Depth=1
	ds_store_b32 v9, v56
.LBB36_45:                              ;   in Loop: Header=BB36_39 Depth=1
	s_or_b32 exec_lo, exec_lo, s25
	s_waitcnt lgkmcnt(0)
	s_barrier
	buffer_gl0_inv
	ds_load_b32 v33, v9
	v_sub_nc_u32_e32 v56, v56, v55
	v_mov_b32_e32 v55, 0
	v_mov_b32_e32 v57, 0
	s_and_saveexec_b32 s25, s24
	s_cbranch_execz .LBB36_47
; %bb.46:                               ;   in Loop: Header=BB36_39 Depth=1
	v_add3_u32 v8, v31, s35, v8
	s_delay_alu instid0(VALU_DEP_1) | instskip(NEXT) | instid1(VALU_DEP_1)
	v_lshlrev_b64 v[57:58], 2, v[8:9]
	v_add_co_u32 v57, s24, s38, v57
	s_delay_alu instid0(VALU_DEP_1) | instskip(SKIP_3) | instid1(VALU_DEP_2)
	v_add_co_ci_u32_e64 v58, s24, s39, v58, s24
	global_load_b32 v8, v[57:58], off
	v_add_nc_u32_e32 v58, s28, v29
	v_add_nc_u32_e32 v57, v56, v5
	v_and_b32_e32 v59, 0xfffff0, v58
	s_delay_alu instid0(VALU_DEP_2) | instskip(NEXT) | instid1(VALU_DEP_2)
	v_ashrrev_i32_e32 v58, 31, v57
	v_lshl_or_b32 v1, v1, 24, v59
	s_delay_alu instid0(VALU_DEP_2) | instskip(NEXT) | instid1(VALU_DEP_2)
	v_lshlrev_b64 v[57:58], 2, v[57:58]
	v_add_nc_u32_e32 v1, 0xff000000, v1
	s_delay_alu instid0(VALU_DEP_2) | instskip(NEXT) | instid1(VALU_DEP_1)
	v_add_co_u32 v59, s24, s52, v57
	v_add_co_ci_u32_e64 v60, s24, s53, v58, s24
	v_add_co_u32 v61, s24, s54, v57
	v_mov_b32_e32 v57, 1
	v_add_co_ci_u32_e64 v62, s24, s55, v58, s24
	global_store_b32 v[59:60], v1, off
	s_waitcnt vmcnt(0)
	global_store_b32 v[61:62], v8, off
.LBB36_47:                              ;   in Loop: Header=BB36_39 Depth=1
	s_or_b32 exec_lo, exec_lo, s25
	s_delay_alu instid0(VALU_DEP_1)
	v_add_nc_u32_e32 v1, v57, v56
	s_and_saveexec_b32 s24, s23
	s_cbranch_execz .LBB36_49
; %bb.48:                               ;   in Loop: Header=BB36_39 Depth=1
	v_add3_u32 v8, v30, s35, v54
	s_delay_alu instid0(VALU_DEP_1) | instskip(NEXT) | instid1(VALU_DEP_1)
	v_lshlrev_b64 v[54:55], 2, v[8:9]
	v_add_co_u32 v54, s23, s38, v54
	s_delay_alu instid0(VALU_DEP_1) | instskip(SKIP_3) | instid1(VALU_DEP_2)
	v_add_co_ci_u32_e64 v55, s23, s39, v55, s23
	global_load_b32 v8, v[54:55], off
	v_add3_u32 v55, v29, s28, 1
	v_add_nc_u32_e32 v54, v1, v5
	v_and_b32_e32 v56, 0xfffff1, v55
	s_delay_alu instid0(VALU_DEP_2) | instskip(NEXT) | instid1(VALU_DEP_2)
	v_ashrrev_i32_e32 v55, 31, v54
	v_lshl_or_b32 v56, v53, 24, v56
	s_delay_alu instid0(VALU_DEP_2) | instskip(NEXT) | instid1(VALU_DEP_2)
	v_lshlrev_b64 v[53:54], 2, v[54:55]
	v_dual_mov_b32 v55, 1 :: v_dual_add_nc_u32 v58, 0xff000000, v56
	s_delay_alu instid0(VALU_DEP_2) | instskip(NEXT) | instid1(VALU_DEP_1)
	v_add_co_u32 v56, s23, s52, v53
	v_add_co_ci_u32_e64 v57, s23, s53, v54, s23
	v_add_co_u32 v53, s23, s54, v53
	s_delay_alu instid0(VALU_DEP_1)
	v_add_co_ci_u32_e64 v54, s23, s55, v54, s23
	global_store_b32 v[56:57], v58, off
	s_waitcnt vmcnt(0)
	global_store_b32 v[53:54], v8, off
.LBB36_49:                              ;   in Loop: Header=BB36_39 Depth=1
	s_or_b32 exec_lo, exec_lo, s24
	s_delay_alu instid0(VALU_DEP_1)
	v_dual_mov_b32 v8, 0 :: v_dual_add_nc_u32 v53, v55, v1
	v_mov_b32_e32 v1, 0
	s_and_saveexec_b32 s23, s22
	s_cbranch_execz .LBB36_51
; %bb.50:                               ;   in Loop: Header=BB36_39 Depth=1
	v_add3_u32 v8, v22, s35, v52
	s_delay_alu instid0(VALU_DEP_1) | instskip(SKIP_1) | instid1(VALU_DEP_1)
	v_lshlrev_b64 v[54:55], 2, v[8:9]
	v_add3_u32 v8, v29, s28, 2
	v_and_b32_e32 v8, 0xfffff2, v8
	s_delay_alu instid0(VALU_DEP_3) | instskip(NEXT) | instid1(VALU_DEP_1)
	v_add_co_u32 v54, s22, s38, v54
	v_add_co_ci_u32_e64 v55, s22, s39, v55, s22
	s_delay_alu instid0(VALU_DEP_3) | instskip(SKIP_3) | instid1(VALU_DEP_2)
	v_lshl_or_b32 v8, v51, 24, v8
	global_load_b32 v56, v[54:55], off
	v_add_nc_u32_e32 v54, v53, v5
	v_dual_mov_b32 v8, 1 :: v_dual_add_nc_u32 v57, 0xff000000, v8
	v_ashrrev_i32_e32 v55, 31, v54
	s_delay_alu instid0(VALU_DEP_1) | instskip(NEXT) | instid1(VALU_DEP_1)
	v_lshlrev_b64 v[51:52], 2, v[54:55]
	v_add_co_u32 v54, s22, s52, v51
	s_delay_alu instid0(VALU_DEP_1) | instskip(SKIP_1) | instid1(VALU_DEP_1)
	v_add_co_ci_u32_e64 v55, s22, s53, v52, s22
	v_add_co_u32 v51, s22, s54, v51
	v_add_co_ci_u32_e64 v52, s22, s55, v52, s22
	global_store_b32 v[54:55], v57, off
	s_waitcnt vmcnt(0)
	global_store_b32 v[51:52], v56, off
.LBB36_51:                              ;   in Loop: Header=BB36_39 Depth=1
	s_or_b32 exec_lo, exec_lo, s23
	v_add_nc_u32_e32 v51, v8, v53
	s_and_saveexec_b32 s22, s21
	s_cbranch_execz .LBB36_53
; %bb.52:                               ;   in Loop: Header=BB36_39 Depth=1
	v_add3_u32 v8, v21, s35, v50
	v_add3_u32 v1, v29, s28, 3
	s_delay_alu instid0(VALU_DEP_2) | instskip(NEXT) | instid1(VALU_DEP_2)
	v_lshlrev_b64 v[52:53], 2, v[8:9]
	v_and_b32_e32 v1, 0xfffff3, v1
	s_delay_alu instid0(VALU_DEP_1) | instskip(NEXT) | instid1(VALU_DEP_3)
	v_lshl_or_b32 v1, v25, 24, v1
	v_add_co_u32 v52, s21, s38, v52
	s_delay_alu instid0(VALU_DEP_1) | instskip(NEXT) | instid1(VALU_DEP_3)
	v_add_co_ci_u32_e64 v53, s21, s39, v53, s21
	v_add_nc_u32_e32 v25, 0xff000000, v1
	v_mov_b32_e32 v1, 1
	global_load_b32 v8, v[52:53], off
	v_add_nc_u32_e32 v52, v51, v5
	s_delay_alu instid0(VALU_DEP_1) | instskip(NEXT) | instid1(VALU_DEP_1)
	v_ashrrev_i32_e32 v53, 31, v52
	v_lshlrev_b64 v[52:53], 2, v[52:53]
	s_delay_alu instid0(VALU_DEP_1) | instskip(NEXT) | instid1(VALU_DEP_1)
	v_add_co_u32 v54, s21, s52, v52
	v_add_co_ci_u32_e64 v55, s21, s53, v53, s21
	v_add_co_u32 v52, s21, s54, v52
	s_delay_alu instid0(VALU_DEP_1)
	v_add_co_ci_u32_e64 v53, s21, s55, v53, s21
	global_store_b32 v[54:55], v25, off
	s_waitcnt vmcnt(0)
	global_store_b32 v[52:53], v8, off
.LBB36_53:                              ;   in Loop: Header=BB36_39 Depth=1
	s_or_b32 exec_lo, exec_lo, s22
	s_delay_alu instid0(VALU_DEP_1)
	v_dual_mov_b32 v8, 0 :: v_dual_add_nc_u32 v25, v1, v51
	v_mov_b32_e32 v1, 0
	s_and_saveexec_b32 s21, s20
	s_cbranch_execz .LBB36_55
; %bb.54:                               ;   in Loop: Header=BB36_39 Depth=1
	v_add3_u32 v8, v20, s35, v49
	s_delay_alu instid0(VALU_DEP_1) | instskip(SKIP_1) | instid1(VALU_DEP_1)
	v_lshlrev_b64 v[49:50], 2, v[8:9]
	v_add3_u32 v8, v29, s28, 4
	v_and_b32_e32 v8, 0xfffff4, v8
	s_delay_alu instid0(VALU_DEP_3) | instskip(NEXT) | instid1(VALU_DEP_1)
	v_add_co_u32 v49, s20, s38, v49
	v_add_co_ci_u32_e64 v50, s20, s39, v50, s20
	s_delay_alu instid0(VALU_DEP_3) | instskip(SKIP_4) | instid1(VALU_DEP_2)
	v_lshl_or_b32 v2, v2, 24, v8
	v_mov_b32_e32 v8, 1
	global_load_b32 v53, v[49:50], off
	v_add_nc_u32_e32 v49, v25, v5
	v_add_nc_u32_e32 v2, 0xff000000, v2
	v_ashrrev_i32_e32 v50, 31, v49
	s_delay_alu instid0(VALU_DEP_1) | instskip(NEXT) | instid1(VALU_DEP_1)
	v_lshlrev_b64 v[49:50], 2, v[49:50]
	v_add_co_u32 v51, s20, s52, v49
	s_delay_alu instid0(VALU_DEP_1) | instskip(SKIP_1) | instid1(VALU_DEP_1)
	v_add_co_ci_u32_e64 v52, s20, s53, v50, s20
	v_add_co_u32 v49, s20, s54, v49
	v_add_co_ci_u32_e64 v50, s20, s55, v50, s20
	global_store_b32 v[51:52], v2, off
	s_waitcnt vmcnt(0)
	global_store_b32 v[49:50], v53, off
.LBB36_55:                              ;   in Loop: Header=BB36_39 Depth=1
	s_or_b32 exec_lo, exec_lo, s21
	v_add_nc_u32_e32 v2, v8, v25
	s_and_saveexec_b32 s20, s19
	s_cbranch_execz .LBB36_57
; %bb.56:                               ;   in Loop: Header=BB36_39 Depth=1
	v_add3_u32 v8, v19, s35, v48
	v_add3_u32 v1, v29, s28, 5
	s_delay_alu instid0(VALU_DEP_2) | instskip(NEXT) | instid1(VALU_DEP_2)
	v_lshlrev_b64 v[48:49], 2, v[8:9]
	v_and_b32_e32 v1, 0xfffff5, v1
	s_delay_alu instid0(VALU_DEP_1) | instskip(NEXT) | instid1(VALU_DEP_3)
	v_lshl_or_b32 v1, v47, 24, v1
	v_add_co_u32 v48, s19, s38, v48
	s_delay_alu instid0(VALU_DEP_1) | instskip(NEXT) | instid1(VALU_DEP_3)
	v_add_co_ci_u32_e64 v49, s19, s39, v49, s19
	v_add_nc_u32_e32 v25, 0xff000000, v1
	v_mov_b32_e32 v1, 1
	global_load_b32 v8, v[48:49], off
	v_add_nc_u32_e32 v48, v2, v5
	s_delay_alu instid0(VALU_DEP_1) | instskip(NEXT) | instid1(VALU_DEP_1)
	v_ashrrev_i32_e32 v49, 31, v48
	v_lshlrev_b64 v[47:48], 2, v[48:49]
	s_delay_alu instid0(VALU_DEP_1) | instskip(NEXT) | instid1(VALU_DEP_1)
	v_add_co_u32 v49, s19, s52, v47
	v_add_co_ci_u32_e64 v50, s19, s53, v48, s19
	v_add_co_u32 v47, s19, s54, v47
	s_delay_alu instid0(VALU_DEP_1)
	v_add_co_ci_u32_e64 v48, s19, s55, v48, s19
	global_store_b32 v[49:50], v25, off
	s_waitcnt vmcnt(0)
	global_store_b32 v[47:48], v8, off
.LBB36_57:                              ;   in Loop: Header=BB36_39 Depth=1
	s_or_b32 exec_lo, exec_lo, s20
	s_delay_alu instid0(VALU_DEP_1)
	v_dual_mov_b32 v1, 0 :: v_dual_add_nc_u32 v2, v1, v2
	v_mov_b32_e32 v8, 0
	s_and_saveexec_b32 s19, s18
	s_cbranch_execz .LBB36_59
; %bb.58:                               ;   in Loop: Header=BB36_39 Depth=1
	v_add3_u32 v8, v18, s35, v46
	s_delay_alu instid0(VALU_DEP_1) | instskip(SKIP_1) | instid1(VALU_DEP_1)
	v_lshlrev_b64 v[46:47], 2, v[8:9]
	v_add3_u32 v8, v29, s28, 6
	v_and_b32_e32 v8, 0xfffff6, v8
	s_delay_alu instid0(VALU_DEP_3) | instskip(NEXT) | instid1(VALU_DEP_1)
	v_add_co_u32 v46, s18, s38, v46
	v_add_co_ci_u32_e64 v47, s18, s39, v47, s18
	s_delay_alu instid0(VALU_DEP_3) | instskip(SKIP_4) | instid1(VALU_DEP_3)
	v_lshl_or_b32 v8, v44, 24, v8
	global_load_b32 v25, v[46:47], off
	v_add_nc_u32_e32 v46, v2, v5
	v_add_nc_u32_e32 v44, 0xff000000, v8
	v_mov_b32_e32 v8, 1
	v_ashrrev_i32_e32 v47, 31, v46
	s_delay_alu instid0(VALU_DEP_1) | instskip(NEXT) | instid1(VALU_DEP_1)
	v_lshlrev_b64 v[46:47], 2, v[46:47]
	v_add_co_u32 v48, s18, s52, v46
	s_delay_alu instid0(VALU_DEP_1) | instskip(SKIP_1) | instid1(VALU_DEP_1)
	v_add_co_ci_u32_e64 v49, s18, s53, v47, s18
	v_add_co_u32 v46, s18, s54, v46
	v_add_co_ci_u32_e64 v47, s18, s55, v47, s18
	global_store_b32 v[48:49], v44, off
	s_waitcnt vmcnt(0)
	global_store_b32 v[46:47], v25, off
.LBB36_59:                              ;   in Loop: Header=BB36_39 Depth=1
	s_or_b32 exec_lo, exec_lo, s19
	s_delay_alu instid0(VALU_DEP_1)
	v_add_nc_u32_e32 v2, v8, v2
	s_and_saveexec_b32 s18, s17
	s_cbranch_execz .LBB36_61
; %bb.60:                               ;   in Loop: Header=BB36_39 Depth=1
	v_and_b32_e32 v1, 0xffff, v45
	v_add3_u32 v25, v29, s28, 7
	s_delay_alu instid0(VALU_DEP_2) | instskip(NEXT) | instid1(VALU_DEP_2)
	v_add3_u32 v8, v17, s35, v1
	v_and_b32_e32 v25, 0xfffff7, v25
	s_delay_alu instid0(VALU_DEP_2) | instskip(NEXT) | instid1(VALU_DEP_2)
	v_lshlrev_b64 v[44:45], 2, v[8:9]
	v_lshl_or_b32 v1, v1, 24, v25
	s_delay_alu instid0(VALU_DEP_1) | instskip(NEXT) | instid1(VALU_DEP_3)
	v_add_nc_u32_e32 v25, 0xff000000, v1
	v_add_co_u32 v44, s17, s38, v44
	s_delay_alu instid0(VALU_DEP_1) | instskip(SKIP_3) | instid1(VALU_DEP_1)
	v_add_co_ci_u32_e64 v45, s17, s39, v45, s17
	v_mov_b32_e32 v1, 1
	global_load_b32 v8, v[44:45], off
	v_add_nc_u32_e32 v44, v2, v5
	v_ashrrev_i32_e32 v45, 31, v44
	s_delay_alu instid0(VALU_DEP_1) | instskip(NEXT) | instid1(VALU_DEP_1)
	v_lshlrev_b64 v[44:45], 2, v[44:45]
	v_add_co_u32 v46, s17, s52, v44
	s_delay_alu instid0(VALU_DEP_1) | instskip(SKIP_1) | instid1(VALU_DEP_1)
	v_add_co_ci_u32_e64 v47, s17, s53, v45, s17
	v_add_co_u32 v44, s17, s54, v44
	v_add_co_ci_u32_e64 v45, s17, s55, v45, s17
	global_store_b32 v[46:47], v25, off
	s_waitcnt vmcnt(0)
	global_store_b32 v[44:45], v8, off
.LBB36_61:                              ;   in Loop: Header=BB36_39 Depth=1
	s_or_b32 exec_lo, exec_lo, s18
	s_delay_alu instid0(VALU_DEP_1)
	v_dual_mov_b32 v1, 0 :: v_dual_add_nc_u32 v2, v1, v2
	v_mov_b32_e32 v8, 0
	s_and_saveexec_b32 s17, s16
	s_cbranch_execz .LBB36_63
; %bb.62:                               ;   in Loop: Header=BB36_39 Depth=1
	v_add3_u32 v8, v16, s35, v43
	s_delay_alu instid0(VALU_DEP_1) | instskip(SKIP_1) | instid1(VALU_DEP_1)
	v_lshlrev_b64 v[43:44], 2, v[8:9]
	v_add3_u32 v8, v29, s28, 8
	v_and_b32_e32 v8, 0xfffff8, v8
	s_delay_alu instid0(VALU_DEP_3) | instskip(NEXT) | instid1(VALU_DEP_1)
	v_add_co_u32 v43, s16, s38, v43
	v_add_co_ci_u32_e64 v44, s16, s39, v44, s16
	s_delay_alu instid0(VALU_DEP_3) | instskip(SKIP_4) | instid1(VALU_DEP_2)
	v_lshl_or_b32 v3, v3, 24, v8
	v_mov_b32_e32 v8, 1
	global_load_b32 v25, v[43:44], off
	v_add_nc_u32_e32 v43, v2, v5
	v_add_nc_u32_e32 v3, 0xff000000, v3
	v_ashrrev_i32_e32 v44, 31, v43
	s_delay_alu instid0(VALU_DEP_1) | instskip(NEXT) | instid1(VALU_DEP_1)
	v_lshlrev_b64 v[43:44], 2, v[43:44]
	v_add_co_u32 v45, s16, s52, v43
	s_delay_alu instid0(VALU_DEP_1) | instskip(SKIP_1) | instid1(VALU_DEP_1)
	v_add_co_ci_u32_e64 v46, s16, s53, v44, s16
	v_add_co_u32 v43, s16, s54, v43
	v_add_co_ci_u32_e64 v44, s16, s55, v44, s16
	global_store_b32 v[45:46], v3, off
	s_waitcnt vmcnt(0)
	global_store_b32 v[43:44], v25, off
.LBB36_63:                              ;   in Loop: Header=BB36_39 Depth=1
	s_or_b32 exec_lo, exec_lo, s17
	s_delay_alu instid0(VALU_DEP_1)
	v_add_nc_u32_e32 v2, v8, v2
	s_and_saveexec_b32 s16, s15
	s_cbranch_execz .LBB36_65
; %bb.64:                               ;   in Loop: Header=BB36_39 Depth=1
	v_add3_u32 v8, v15, s35, v42
	v_add3_u32 v1, v29, s28, 9
	s_delay_alu instid0(VALU_DEP_2) | instskip(NEXT) | instid1(VALU_DEP_2)
	v_lshlrev_b64 v[42:43], 2, v[8:9]
	v_and_b32_e32 v1, 0xfffff9, v1
	s_delay_alu instid0(VALU_DEP_1) | instskip(NEXT) | instid1(VALU_DEP_3)
	v_lshl_or_b32 v1, v41, 24, v1
	v_add_co_u32 v42, s15, s38, v42
	s_delay_alu instid0(VALU_DEP_1) | instskip(NEXT) | instid1(VALU_DEP_3)
	v_add_co_ci_u32_e64 v43, s15, s39, v43, s15
	v_dual_mov_b32 v1, 1 :: v_dual_add_nc_u32 v8, 0xff000000, v1
	global_load_b32 v3, v[42:43], off
	v_add_nc_u32_e32 v42, v2, v5
	s_delay_alu instid0(VALU_DEP_1) | instskip(NEXT) | instid1(VALU_DEP_1)
	v_ashrrev_i32_e32 v43, 31, v42
	v_lshlrev_b64 v[41:42], 2, v[42:43]
	s_delay_alu instid0(VALU_DEP_1) | instskip(NEXT) | instid1(VALU_DEP_1)
	v_add_co_u32 v43, s15, s52, v41
	v_add_co_ci_u32_e64 v44, s15, s53, v42, s15
	v_add_co_u32 v41, s15, s54, v41
	s_delay_alu instid0(VALU_DEP_1)
	v_add_co_ci_u32_e64 v42, s15, s55, v42, s15
	global_store_b32 v[43:44], v8, off
	s_waitcnt vmcnt(0)
	global_store_b32 v[41:42], v3, off
.LBB36_65:                              ;   in Loop: Header=BB36_39 Depth=1
	s_or_b32 exec_lo, exec_lo, s16
	s_delay_alu instid0(VALU_DEP_1)
	v_dual_mov_b32 v1, 0 :: v_dual_add_nc_u32 v2, v1, v2
	v_mov_b32_e32 v3, 0
	s_and_saveexec_b32 s15, s14
	s_cbranch_execz .LBB36_67
; %bb.66:                               ;   in Loop: Header=BB36_39 Depth=1
	v_add3_u32 v8, v14, s35, v40
	v_add3_u32 v3, v29, s28, 10
	s_delay_alu instid0(VALU_DEP_2) | instskip(NEXT) | instid1(VALU_DEP_2)
	v_lshlrev_b64 v[40:41], 2, v[8:9]
	v_and_b32_e32 v3, 0xfffffa, v3
	s_delay_alu instid0(VALU_DEP_1) | instskip(NEXT) | instid1(VALU_DEP_3)
	v_lshl_or_b32 v3, v39, 24, v3
	v_add_co_u32 v40, s14, s38, v40
	s_delay_alu instid0(VALU_DEP_1) | instskip(NEXT) | instid1(VALU_DEP_3)
	v_add_co_ci_u32_e64 v41, s14, s39, v41, s14
	v_add_nc_u32_e32 v25, 0xff000000, v3
	v_mov_b32_e32 v3, 1
	global_load_b32 v8, v[40:41], off
	v_add_nc_u32_e32 v40, v2, v5
	s_delay_alu instid0(VALU_DEP_1) | instskip(NEXT) | instid1(VALU_DEP_1)
	v_ashrrev_i32_e32 v41, 31, v40
	v_lshlrev_b64 v[39:40], 2, v[40:41]
	s_delay_alu instid0(VALU_DEP_1) | instskip(NEXT) | instid1(VALU_DEP_1)
	v_add_co_u32 v41, s14, s52, v39
	v_add_co_ci_u32_e64 v42, s14, s53, v40, s14
	v_add_co_u32 v39, s14, s54, v39
	s_delay_alu instid0(VALU_DEP_1)
	v_add_co_ci_u32_e64 v40, s14, s55, v40, s14
	global_store_b32 v[41:42], v25, off
	s_waitcnt vmcnt(0)
	global_store_b32 v[39:40], v8, off
.LBB36_67:                              ;   in Loop: Header=BB36_39 Depth=1
	s_or_b32 exec_lo, exec_lo, s15
	s_delay_alu instid0(VALU_DEP_1)
	v_add_nc_u32_e32 v2, v3, v2
	s_and_saveexec_b32 s14, s13
	s_cbranch_execz .LBB36_69
; %bb.68:                               ;   in Loop: Header=BB36_39 Depth=1
	v_add3_u32 v8, v13, s35, v38
	v_add3_u32 v1, v29, s28, 11
	s_delay_alu instid0(VALU_DEP_2) | instskip(NEXT) | instid1(VALU_DEP_2)
	v_lshlrev_b64 v[38:39], 2, v[8:9]
	v_and_b32_e32 v1, 0xfffffb, v1
	s_delay_alu instid0(VALU_DEP_1) | instskip(NEXT) | instid1(VALU_DEP_3)
	v_lshl_or_b32 v1, v23, 24, v1
	v_add_co_u32 v38, s13, s38, v38
	s_delay_alu instid0(VALU_DEP_1) | instskip(NEXT) | instid1(VALU_DEP_3)
	v_add_co_ci_u32_e64 v39, s13, s39, v39, s13
	v_dual_mov_b32 v1, 1 :: v_dual_add_nc_u32 v8, 0xff000000, v1
	global_load_b32 v3, v[38:39], off
	v_add_nc_u32_e32 v38, v2, v5
	s_delay_alu instid0(VALU_DEP_1) | instskip(NEXT) | instid1(VALU_DEP_1)
	v_ashrrev_i32_e32 v39, 31, v38
	v_lshlrev_b64 v[38:39], 2, v[38:39]
	s_delay_alu instid0(VALU_DEP_1) | instskip(NEXT) | instid1(VALU_DEP_1)
	v_add_co_u32 v40, s13, s52, v38
	v_add_co_ci_u32_e64 v41, s13, s53, v39, s13
	v_add_co_u32 v38, s13, s54, v38
	s_delay_alu instid0(VALU_DEP_1)
	v_add_co_ci_u32_e64 v39, s13, s55, v39, s13
	global_store_b32 v[40:41], v8, off
	s_waitcnt vmcnt(0)
	global_store_b32 v[38:39], v3, off
.LBB36_69:                              ;   in Loop: Header=BB36_39 Depth=1
	s_or_b32 exec_lo, exec_lo, s14
	s_delay_alu instid0(VALU_DEP_1)
	v_dual_mov_b32 v1, 0 :: v_dual_add_nc_u32 v2, v1, v2
	v_mov_b32_e32 v3, 0
	s_and_saveexec_b32 s13, s12
	s_cbranch_execz .LBB36_71
; %bb.70:                               ;   in Loop: Header=BB36_39 Depth=1
	v_add3_u32 v8, v12, s35, v37
	v_add3_u32 v3, v29, s28, 12
	s_delay_alu instid0(VALU_DEP_2) | instskip(NEXT) | instid1(VALU_DEP_2)
	v_lshlrev_b64 v[37:38], 2, v[8:9]
	v_and_b32_e32 v3, 0xfffffc, v3
	s_delay_alu instid0(VALU_DEP_1) | instskip(NEXT) | instid1(VALU_DEP_3)
	v_lshl_or_b32 v23, v4, 24, v3
	v_add_co_u32 v37, s12, s38, v37
	s_delay_alu instid0(VALU_DEP_1) | instskip(NEXT) | instid1(VALU_DEP_3)
	v_add_co_ci_u32_e64 v38, s12, s39, v38, s12
	v_add_nc_u32_e32 v23, 0xff000000, v23
	global_load_b32 v8, v[37:38], off
	v_add_nc_u32_e32 v37, v2, v5
	s_delay_alu instid0(VALU_DEP_1) | instskip(NEXT) | instid1(VALU_DEP_1)
	v_ashrrev_i32_e32 v38, 31, v37
	v_lshlrev_b64 v[3:4], 2, v[37:38]
	s_delay_alu instid0(VALU_DEP_1) | instskip(NEXT) | instid1(VALU_DEP_1)
	v_add_co_u32 v37, s12, s52, v3
	v_add_co_ci_u32_e64 v38, s12, s53, v4, s12
	v_add_co_u32 v39, s12, s54, v3
	v_mov_b32_e32 v3, 1
	v_add_co_ci_u32_e64 v40, s12, s55, v4, s12
	global_store_b32 v[37:38], v23, off
	s_waitcnt vmcnt(0)
	global_store_b32 v[39:40], v8, off
.LBB36_71:                              ;   in Loop: Header=BB36_39 Depth=1
	s_or_b32 exec_lo, exec_lo, s13
	s_delay_alu instid0(VALU_DEP_1)
	v_add_nc_u32_e32 v2, v3, v2
	s_and_saveexec_b32 s12, s11
	s_cbranch_execz .LBB36_73
; %bb.72:                               ;   in Loop: Header=BB36_39 Depth=1
	v_add3_u32 v8, v11, s35, v36
	v_add3_u32 v1, v29, s28, 13
	s_delay_alu instid0(VALU_DEP_2) | instskip(NEXT) | instid1(VALU_DEP_2)
	v_lshlrev_b64 v[3:4], 2, v[8:9]
	v_and_b32_e32 v1, 0xfffffd, v1
	s_delay_alu instid0(VALU_DEP_1) | instskip(NEXT) | instid1(VALU_DEP_3)
	v_lshl_or_b32 v1, v35, 24, v1
	v_add_co_u32 v3, s11, s38, v3
	s_delay_alu instid0(VALU_DEP_1) | instskip(NEXT) | instid1(VALU_DEP_3)
	v_add_co_ci_u32_e64 v4, s11, s39, v4, s11
	v_add_nc_u32_e32 v23, 0xff000000, v1
	v_mov_b32_e32 v1, 1
	global_load_b32 v8, v[3:4], off
	v_add_nc_u32_e32 v3, v2, v5
	s_delay_alu instid0(VALU_DEP_1) | instskip(NEXT) | instid1(VALU_DEP_1)
	v_ashrrev_i32_e32 v4, 31, v3
	v_lshlrev_b64 v[3:4], 2, v[3:4]
	s_delay_alu instid0(VALU_DEP_1) | instskip(NEXT) | instid1(VALU_DEP_1)
	v_add_co_u32 v35, s11, s52, v3
	v_add_co_ci_u32_e64 v36, s11, s53, v4, s11
	v_add_co_u32 v3, s11, s54, v3
	s_delay_alu instid0(VALU_DEP_1)
	v_add_co_ci_u32_e64 v4, s11, s55, v4, s11
	global_store_b32 v[35:36], v23, off
	s_waitcnt vmcnt(0)
	global_store_b32 v[3:4], v8, off
.LBB36_73:                              ;   in Loop: Header=BB36_39 Depth=1
	s_or_b32 exec_lo, exec_lo, s12
	s_delay_alu instid0(VALU_DEP_1)
	v_dual_mov_b32 v2, 0 :: v_dual_add_nc_u32 v1, v1, v2
	s_and_saveexec_b32 s11, s10
	s_cbranch_execz .LBB36_75
; %bb.74:                               ;   in Loop: Header=BB36_39 Depth=1
	v_add3_u32 v8, v10, s35, v34
	s_delay_alu instid0(VALU_DEP_1) | instskip(NEXT) | instid1(VALU_DEP_1)
	v_lshlrev_b64 v[2:3], 2, v[8:9]
	v_add_co_u32 v2, s10, s38, v2
	s_delay_alu instid0(VALU_DEP_1) | instskip(SKIP_3) | instid1(VALU_DEP_2)
	v_add_co_ci_u32_e64 v3, s10, s39, v3, s10
	global_load_b32 v4, v[2:3], off
	v_add3_u32 v3, v29, s28, 14
	v_add_nc_u32_e32 v2, v1, v5
	v_and_b32_e32 v8, 0xfffffe, v3
	s_delay_alu instid0(VALU_DEP_2) | instskip(NEXT) | instid1(VALU_DEP_2)
	v_ashrrev_i32_e32 v3, 31, v2
	v_lshl_or_b32 v8, v24, 24, v8
	s_delay_alu instid0(VALU_DEP_2) | instskip(NEXT) | instid1(VALU_DEP_2)
	v_lshlrev_b64 v[2:3], 2, v[2:3]
	v_add_nc_u32_e32 v8, 0xff000000, v8
	s_delay_alu instid0(VALU_DEP_2) | instskip(NEXT) | instid1(VALU_DEP_1)
	v_add_co_u32 v23, s10, s52, v2
	v_add_co_ci_u32_e64 v24, s10, s53, v3, s10
	v_add_co_u32 v34, s10, s54, v2
	v_mov_b32_e32 v2, 1
	v_add_co_ci_u32_e64 v35, s10, s55, v3, s10
	global_store_b32 v[23:24], v8, off
	s_waitcnt vmcnt(0)
	global_store_b32 v[34:35], v4, off
.LBB36_75:                              ;   in Loop: Header=BB36_39 Depth=1
	s_or_b32 exec_lo, exec_lo, s11
	s_and_saveexec_b32 s10, s9
	s_cbranch_execz .LBB36_38
; %bb.76:                               ;   in Loop: Header=BB36_39 Depth=1
	v_and_b32_e32 v23, 0xffff, v26
	v_add3_u32 v1, v1, v5, v2
	s_delay_alu instid0(VALU_DEP_2) | instskip(NEXT) | instid1(VALU_DEP_2)
	v_add3_u32 v8, v7, s35, v23
	v_ashrrev_i32_e32 v2, 31, v1
	s_delay_alu instid0(VALU_DEP_2) | instskip(NEXT) | instid1(VALU_DEP_2)
	v_lshlrev_b64 v[3:4], 2, v[8:9]
	v_lshlrev_b64 v[1:2], 2, v[1:2]
	s_delay_alu instid0(VALU_DEP_2) | instskip(NEXT) | instid1(VALU_DEP_1)
	v_add_co_u32 v3, s9, s38, v3
	v_add_co_ci_u32_e64 v4, s9, s39, v4, s9
	global_load_b32 v8, v[3:4], off
	v_add_nc_u32_e32 v3, -1, v23
	v_add3_u32 v4, v29, s28, 15
	s_delay_alu instid0(VALU_DEP_1) | instskip(SKIP_1) | instid1(VALU_DEP_1)
	v_perm_b32 v23, v3, v4, 0x4020100
	v_add_co_u32 v3, s9, s52, v1
	v_add_co_ci_u32_e64 v4, s9, s53, v2, s9
	v_add_co_u32 v1, s9, s54, v1
	s_delay_alu instid0(VALU_DEP_1)
	v_add_co_ci_u32_e64 v2, s9, s55, v2, s9
	global_store_b32 v[3:4], v23, off
	s_waitcnt vmcnt(0)
	global_store_b32 v[1:2], v8, off
	s_branch .LBB36_38
.LBB36_77:
	s_waitcnt lgkmcnt(0)
	v_add3_u32 v0, v33, v5, v0
	s_mov_b32 s0, exec_lo
	s_delay_alu instid0(VALU_DEP_1)
	v_cmpx_lt_i32_e64 v0, v6
	s_cbranch_execz .LBB36_80
; %bb.78:
	v_ashrrev_i32_e32 v1, 31, v0
	s_and_b32 s0, s30, 0xffffff
	s_lshl_b32 s1, s27, 24
	v_mov_b32_e32 v7, 0
	s_or_b32 s0, s0, s1
	v_lshlrev_b64 v[3:4], 2, v[0:1]
	v_mov_b32_e32 v5, s0
	s_mov_b32 s1, 0
	s_delay_alu instid0(VALU_DEP_2) | instskip(NEXT) | instid1(VALU_DEP_3)
	v_add_co_u32 v1, vcc_lo, s52, v3
	v_add_co_ci_u32_e32 v2, vcc_lo, s53, v4, vcc_lo
	v_add_co_u32 v3, vcc_lo, s54, v3
	v_add_co_ci_u32_e32 v4, vcc_lo, s55, v4, vcc_lo
	.p2align	6
.LBB36_79:                              ; =>This Inner Loop Header: Depth=1
	v_add_nc_u32_e32 v0, 0x100, v0
	global_store_b32 v[1:2], v5, off
	global_store_b32 v[3:4], v7, off
	v_add_co_u32 v1, vcc_lo, 0x400, v1
	v_add_co_ci_u32_e32 v2, vcc_lo, 0, v2, vcc_lo
	v_cmp_ge_i32_e32 vcc_lo, v0, v6
	v_add_co_u32 v3, s0, 0x400, v3
	s_delay_alu instid0(VALU_DEP_1) | instskip(SKIP_1) | instid1(SALU_CYCLE_1)
	v_add_co_ci_u32_e64 v4, s0, 0, v4, s0
	s_or_b32 s1, vcc_lo, s1
	s_and_not1_b32 exec_lo, exec_lo, s1
	s_cbranch_execnz .LBB36_79
.LBB36_80:
	s_nop 0
	s_sendmsg sendmsg(MSG_DEALLOC_VGPRS)
	s_endpgm
	.section	.rodata,"a",@progbits
	.p2align	6, 0x0
	.amdhsa_kernel _ZN5aiter22opus_moe_sorting_entryINS_30MoeSortingMultiPhaseKernel_P23INS_19MoeSortingProblemMpIifhLi16ELb1ELb1ELb1EEEEENS4_5KargsEEEvT0_
		.amdhsa_group_segment_fixed_size 0
		.amdhsa_private_segment_fixed_size 0
		.amdhsa_kernarg_size 400
		.amdhsa_user_sgpr_count 15
		.amdhsa_user_sgpr_dispatch_ptr 0
		.amdhsa_user_sgpr_queue_ptr 0
		.amdhsa_user_sgpr_kernarg_segment_ptr 1
		.amdhsa_user_sgpr_dispatch_id 0
		.amdhsa_user_sgpr_private_segment_size 0
		.amdhsa_wavefront_size32 1
		.amdhsa_uses_dynamic_stack 0
		.amdhsa_enable_private_segment 0
		.amdhsa_system_sgpr_workgroup_id_x 1
		.amdhsa_system_sgpr_workgroup_id_y 0
		.amdhsa_system_sgpr_workgroup_id_z 0
		.amdhsa_system_sgpr_workgroup_info 0
		.amdhsa_system_vgpr_workitem_id 0
		.amdhsa_next_free_vgpr 64
		.amdhsa_next_free_sgpr 60
		.amdhsa_reserve_vcc 1
		.amdhsa_float_round_mode_32 0
		.amdhsa_float_round_mode_16_64 0
		.amdhsa_float_denorm_mode_32 3
		.amdhsa_float_denorm_mode_16_64 3
		.amdhsa_dx10_clamp 1
		.amdhsa_ieee_mode 1
		.amdhsa_fp16_overflow 0
		.amdhsa_workgroup_processor_mode 1
		.amdhsa_memory_ordered 1
		.amdhsa_forward_progress 0
		.amdhsa_shared_vgpr_count 0
		.amdhsa_exception_fp_ieee_invalid_op 0
		.amdhsa_exception_fp_denorm_src 0
		.amdhsa_exception_fp_ieee_div_zero 0
		.amdhsa_exception_fp_ieee_overflow 0
		.amdhsa_exception_fp_ieee_underflow 0
		.amdhsa_exception_fp_ieee_inexact 0
		.amdhsa_exception_int_div_zero 0
	.end_amdhsa_kernel
	.section	.text._ZN5aiter22opus_moe_sorting_entryINS_30MoeSortingMultiPhaseKernel_P23INS_19MoeSortingProblemMpIifhLi16ELb1ELb1ELb1EEEEENS4_5KargsEEEvT0_,"axG",@progbits,_ZN5aiter22opus_moe_sorting_entryINS_30MoeSortingMultiPhaseKernel_P23INS_19MoeSortingProblemMpIifhLi16ELb1ELb1ELb1EEEEENS4_5KargsEEEvT0_,comdat
.Lfunc_end36:
	.size	_ZN5aiter22opus_moe_sorting_entryINS_30MoeSortingMultiPhaseKernel_P23INS_19MoeSortingProblemMpIifhLi16ELb1ELb1ELb1EEEEENS4_5KargsEEEvT0_, .Lfunc_end36-_ZN5aiter22opus_moe_sorting_entryINS_30MoeSortingMultiPhaseKernel_P23INS_19MoeSortingProblemMpIifhLi16ELb1ELb1ELb1EEEEENS4_5KargsEEEvT0_
                                        ; -- End function
	.section	.AMDGPU.csdata,"",@progbits
; Kernel info:
; codeLenInByte = 6444
; NumSgprs: 62
; NumVgprs: 64
; ScratchSize: 0
; MemoryBound: 0
; FloatMode: 240
; IeeeMode: 1
; LDSByteSize: 0 bytes/workgroup (compile time only)
; SGPRBlocks: 7
; VGPRBlocks: 7
; NumSGPRsForWavesPerEU: 62
; NumVGPRsForWavesPerEU: 64
; Occupancy: 16
; WaveLimiterHint : 0
; COMPUTE_PGM_RSRC2:SCRATCH_EN: 0
; COMPUTE_PGM_RSRC2:USER_SGPR: 15
; COMPUTE_PGM_RSRC2:TRAP_HANDLER: 0
; COMPUTE_PGM_RSRC2:TGID_X_EN: 1
; COMPUTE_PGM_RSRC2:TGID_Y_EN: 0
; COMPUTE_PGM_RSRC2:TGID_Z_EN: 0
; COMPUTE_PGM_RSRC2:TIDIG_COMP_CNT: 0
	.section	.text._ZN5aiter22opus_moe_sorting_entryINS_32MoeSortingMultiPhaseKernel_P0_v2INS_19MoeSortingProblemMpIifhLi4ELb1ELb0ELb1EEEEENS4_5KargsEEEvT0_,"axG",@progbits,_ZN5aiter22opus_moe_sorting_entryINS_32MoeSortingMultiPhaseKernel_P0_v2INS_19MoeSortingProblemMpIifhLi4ELb1ELb0ELb1EEEEENS4_5KargsEEEvT0_,comdat
	.protected	_ZN5aiter22opus_moe_sorting_entryINS_32MoeSortingMultiPhaseKernel_P0_v2INS_19MoeSortingProblemMpIifhLi4ELb1ELb0ELb1EEEEENS4_5KargsEEEvT0_ ; -- Begin function _ZN5aiter22opus_moe_sorting_entryINS_32MoeSortingMultiPhaseKernel_P0_v2INS_19MoeSortingProblemMpIifhLi4ELb1ELb0ELb1EEEEENS4_5KargsEEEvT0_
	.globl	_ZN5aiter22opus_moe_sorting_entryINS_32MoeSortingMultiPhaseKernel_P0_v2INS_19MoeSortingProblemMpIifhLi4ELb1ELb0ELb1EEEEENS4_5KargsEEEvT0_
	.p2align	8
	.type	_ZN5aiter22opus_moe_sorting_entryINS_32MoeSortingMultiPhaseKernel_P0_v2INS_19MoeSortingProblemMpIifhLi4ELb1ELb0ELb1EEEEENS4_5KargsEEEvT0_,@function
_ZN5aiter22opus_moe_sorting_entryINS_32MoeSortingMultiPhaseKernel_P0_v2INS_19MoeSortingProblemMpIifhLi4ELb1ELb0ELb1EEEEENS4_5KargsEEEvT0_: ; @_ZN5aiter22opus_moe_sorting_entryINS_32MoeSortingMultiPhaseKernel_P0_v2INS_19MoeSortingProblemMpIifhLi4ELb1ELb0ELb1EEEEENS4_5KargsEEEvT0_
; %bb.0:
	s_clause 0x2
	s_load_b128 s[4:7], s[0:1], 0x18
	s_load_b64 s[10:11], s[0:1], 0x10
	s_load_b32 s21, s[0:1], 0x28
	s_mov_b32 s8, s15
	s_mov_b32 s3, exec_lo
	s_waitcnt lgkmcnt(0)
	s_mul_i32 s9, s5, s15
	s_delay_alu instid0(SALU_CYCLE_1)
	s_ashr_i32 s20, s9, 31
	s_add_u32 s12, s10, s9
	s_addc_u32 s13, s11, s20
	v_cmpx_gt_i32_e64 s5, v0
	s_cbranch_execz .LBB37_8
; %bb.1:
	v_xad_u32 v2, v0, -1, s5
	v_mov_b32_e32 v1, v0
	s_mov_b32 s14, -1
	s_mov_b32 s2, exec_lo
	s_delay_alu instid0(VALU_DEP_2)
	v_cmpx_lt_u32_e32 0xdff, v2
	s_cbranch_execz .LBB37_5
; %bb.2:
	v_lshrrev_b32_e32 v1, 9, v2
	v_add_nc_u32_e32 v3, 0x600, v0
	v_or_b32_e32 v2, 0x400, v0
	s_mov_b32 s14, 0
	v_mov_b32_e32 v7, 0
	v_add_nc_u32_e32 v5, 1, v1
	v_add_nc_u32_e32 v1, 0x200, v0
	v_mov_b32_e32 v4, v3
	v_mov_b32_e32 v3, v2
	s_delay_alu instid0(VALU_DEP_3) | instskip(SKIP_1) | instid1(VALU_DEP_1)
	v_mov_b32_e32 v2, v1
	v_dual_mov_b32 v1, v0 :: v_dual_and_b32 v6, 0xfffff8, v5
	v_mov_b32_e32 v8, v6
.LBB37_3:                               ; =>This Inner Loop Header: Depth=1
	s_delay_alu instid0(VALU_DEP_2) | instskip(NEXT) | instid1(VALU_DEP_1)
	v_add_co_u32 v9, s15, s12, v1
	v_add_co_ci_u32_e64 v10, null, s13, 0, s15
	v_add_co_u32 v11, s15, s12, v2
	v_add_nc_u32_e32 v17, 0x800, v1
	v_add_co_ci_u32_e64 v12, null, s13, 0, s15
	v_add_co_u32 v13, s15, s12, v3
	v_add_nc_u32_e32 v19, 0x800, v2
	v_add_co_ci_u32_e64 v14, null, s13, 0, s15
	v_add_co_u32 v15, s15, s12, v4
	v_add_nc_u32_e32 v21, 0x800, v3
	v_add_co_ci_u32_e64 v16, null, s13, 0, s15
	v_add_nc_u32_e32 v8, -8, v8
	v_add_co_u32 v17, s15, s12, v17
	v_add_nc_u32_e32 v23, 0x800, v4
	v_add_co_ci_u32_e64 v18, null, s13, 0, s15
	v_add_co_u32 v19, s15, s12, v19
	s_delay_alu instid0(VALU_DEP_1)
	v_add_co_ci_u32_e64 v20, null, s13, 0, s15
	v_add_co_u32 v21, s15, s12, v21
	v_cmp_eq_u32_e32 vcc_lo, 0, v8
	v_add_co_ci_u32_e64 v22, null, s13, 0, s15
	v_add_co_u32 v23, s15, s12, v23
	v_add_nc_u32_e32 v4, 0x1000, v4
	v_add_nc_u32_e32 v3, 0x1000, v3
	;; [unrolled: 1-line block ×4, first 2 shown]
	v_add_co_ci_u32_e64 v24, null, s13, 0, s15
	s_or_b32 s14, vcc_lo, s14
	s_clause 0x7
	global_store_b8 v[9:10], v7, off
	global_store_b8 v[11:12], v7, off
	;; [unrolled: 1-line block ×8, first 2 shown]
	s_and_not1_b32 exec_lo, exec_lo, s14
	s_cbranch_execnz .LBB37_3
; %bb.4:
	s_or_b32 exec_lo, exec_lo, s14
	v_cmp_ne_u32_e32 vcc_lo, v5, v6
	v_lshl_or_b32 v1, v6, 9, v0
	s_or_not1_b32 s14, vcc_lo, exec_lo
.LBB37_5:
	s_or_b32 exec_lo, exec_lo, s2
	s_delay_alu instid0(SALU_CYCLE_1)
	s_and_b32 exec_lo, exec_lo, s14
	s_cbranch_execz .LBB37_8
; %bb.6:
	v_mov_b32_e32 v2, 0
	s_mov_b32 s14, 0
	s_delay_alu instid0(VALU_DEP_1)
	v_dual_mov_b32 v4, v2 :: v_dual_mov_b32 v3, v1
.LBB37_7:                               ; =>This Inner Loop Header: Depth=1
	s_delay_alu instid0(VALU_DEP_1) | instskip(SKIP_1) | instid1(VALU_DEP_3)
	v_add_co_u32 v5, vcc_lo, s12, v3
	v_add_co_u32 v3, s2, 0x200, v3
	v_add_co_ci_u32_e32 v6, vcc_lo, s13, v4, vcc_lo
	v_add_co_ci_u32_e64 v4, vcc_lo, 0, v4, s2
	s_delay_alu instid0(VALU_DEP_3) | instskip(SKIP_2) | instid1(SALU_CYCLE_1)
	v_cmp_le_i32_e32 vcc_lo, s5, v3
	global_store_b8 v[5:6], v2, off
	s_or_b32 s14, vcc_lo, s14
	s_and_not1_b32 exec_lo, exec_lo, s14
	s_cbranch_execnz .LBB37_7
.LBB37_8:
	s_or_b32 exec_lo, exec_lo, s3
	s_load_b64 s[2:3], s[0:1], 0x38
	s_mul_i32 s4, s6, s4
	s_mov_b32 s22, exec_lo
	s_lshr_b32 s4, s4, 2
	s_waitcnt lgkmcnt(0)
	s_waitcnt_vscnt null, 0x0
	s_barrier
	buffer_gl0_inv
	v_cmpx_gt_u32_e64 s4, v0
	s_cbranch_execz .LBB37_56
; %bb.9:
	v_xad_u32 v16, v0, -1, s4
	s_load_b64 s[16:17], s[0:1], 0x0
	v_mov_b32_e32 v5, v0
	s_mov_b32 s15, 0
	s_mov_b32 s14, s7
	v_lshrrev_b32_e32 v1, 9, v16
	s_mov_b32 s1, exec_lo
	s_delay_alu instid0(VALU_DEP_1) | instskip(NEXT) | instid1(VALU_DEP_1)
	v_add_nc_u32_e32 v1, 1, v1
	v_and_b32_e32 v1, 3, v1
	s_delay_alu instid0(VALU_DEP_1)
	v_cmpx_ne_u32_e32 0, v1
	s_cbranch_execz .LBB37_21
; %bb.10:
	v_lshlrev_b32_e32 v17, 2, v0
	v_mad_u64_u32 v[2:3], null, v0, s14, 0
	v_lshlrev_b32_e32 v14, 4, v0
	v_lshlrev_b32_e32 v18, 11, v1
	s_delay_alu instid0(VALU_DEP_4) | instskip(SKIP_3) | instid1(VALU_DEP_4)
	v_or_b32_e32 v4, 3, v17
	v_or_b32_e32 v5, 2, v17
	v_mad_u64_u32 v[10:11], null, s14, v17, s[14:15]
	v_lshlrev_b64 v[12:13], 2, v[2:3]
	v_mad_u64_u32 v[6:7], null, v4, s14, 0
	s_delay_alu instid0(VALU_DEP_4) | instskip(SKIP_3) | instid1(VALU_DEP_1)
	v_mad_u64_u32 v[8:9], null, v5, s14, 0
	v_mov_b32_e32 v5, v0
	s_waitcnt lgkmcnt(0)
	v_add_co_u32 v14, s0, s16, v14
	v_add_co_ci_u32_e64 v15, null, s17, 0, s0
	s_sub_i32 s7, 0, s6
	s_lshl_b64 s[18:19], s[14:15], 11
	s_mov_b32 s23, s15
	s_branch .LBB37_12
.LBB37_11:                              ;   in Loop: Header=BB37_12 Depth=1
	s_or_b32 exec_lo, exec_lo, s0
	v_add_co_u32 v6, vcc_lo, v6, s18
	v_add_co_ci_u32_e32 v7, vcc_lo, s19, v7, vcc_lo
	v_add_co_u32 v8, vcc_lo, v8, s18
	v_add_co_ci_u32_e32 v9, vcc_lo, s19, v9, vcc_lo
	;; [unrolled: 2-line block ×3, first 2 shown]
	v_add_co_u32 v12, vcc_lo, v12, s18
	s_addk_i32 s23, 0x800
	v_add_co_ci_u32_e32 v13, vcc_lo, s19, v13, vcc_lo
	v_cmp_eq_u32_e32 vcc_lo, s23, v18
	v_add_co_u32 v14, s0, 0x2000, v14
	v_add_nc_u32_e32 v5, 0x200, v5
	v_add_co_ci_u32_e64 v15, s0, 0, v15, s0
	s_or_b32 s15, vcc_lo, s15
	s_delay_alu instid0(SALU_CYCLE_1)
	s_and_not1_b32 exec_lo, exec_lo, s15
	s_cbranch_execz .LBB37_20
.LBB37_12:                              ; =>This Inner Loop Header: Depth=1
	global_load_b128 v[1:4], v[14:15], off
	s_waitcnt vmcnt(0)
	v_cmp_eq_u32_e32 vcc_lo, s8, v1
	v_add_nc_u32_e32 v1, s23, v17
	s_and_saveexec_b32 s0, vcc_lo
	s_cbranch_execnz .LBB37_16
; %bb.13:                               ;   in Loop: Header=BB37_12 Depth=1
	s_or_b32 exec_lo, exec_lo, s0
	s_delay_alu instid0(SALU_CYCLE_1)
	s_mov_b32 s0, exec_lo
	v_cmpx_eq_u32_e64 s8, v2
	s_cbranch_execnz .LBB37_17
.LBB37_14:                              ;   in Loop: Header=BB37_12 Depth=1
	s_or_b32 exec_lo, exec_lo, s0
	s_delay_alu instid0(SALU_CYCLE_1)
	s_mov_b32 s0, exec_lo
	v_cmpx_eq_u32_e64 s8, v3
	s_cbranch_execnz .LBB37_18
.LBB37_15:                              ;   in Loop: Header=BB37_12 Depth=1
	s_or_b32 exec_lo, exec_lo, s0
	s_delay_alu instid0(SALU_CYCLE_1)
	s_mov_b32 s0, exec_lo
	v_cmpx_eq_u32_e64 s8, v4
	s_cbranch_execz .LBB37_11
	s_branch .LBB37_19
.LBB37_16:                              ;   in Loop: Header=BB37_12 Depth=1
	s_delay_alu instid0(VALU_DEP_1) | instskip(NEXT) | instid1(VALU_DEP_1)
	v_add_nc_u32_e32 v19, v1, v13
	v_lshrrev_b32_e32 v21, s21, v19
	s_delay_alu instid0(VALU_DEP_1) | instskip(NEXT) | instid1(VALU_DEP_1)
	v_mad_u64_u32 v[19:20], null, s7, v21, v[1:2]
	v_add_nc_u16 v19, v19, 1
	global_store_b8 v21, v19, s[12:13]
	s_or_b32 exec_lo, exec_lo, s0
	s_delay_alu instid0(SALU_CYCLE_1)
	s_mov_b32 s0, exec_lo
	v_cmpx_eq_u32_e64 s8, v2
	s_cbranch_execz .LBB37_14
.LBB37_17:                              ;   in Loop: Header=BB37_12 Depth=1
	v_add3_u32 v2, v11, v1, 1
	s_delay_alu instid0(VALU_DEP_1) | instskip(NEXT) | instid1(VALU_DEP_1)
	v_lshrrev_b32_e32 v2, s21, v2
	v_mad_u64_u32 v[19:20], null, s7, v2, v[1:2]
	s_delay_alu instid0(VALU_DEP_1) | instskip(SKIP_2) | instid1(SALU_CYCLE_1)
	v_add_nc_u16 v19, v19, 2
	global_store_b8 v2, v19, s[12:13]
	s_or_b32 exec_lo, exec_lo, s0
	s_mov_b32 s0, exec_lo
	v_cmpx_eq_u32_e64 s8, v3
	s_cbranch_execz .LBB37_15
.LBB37_18:                              ;   in Loop: Header=BB37_12 Depth=1
	v_add3_u32 v2, v9, v1, 2
	s_delay_alu instid0(VALU_DEP_1) | instskip(NEXT) | instid1(VALU_DEP_1)
	v_lshrrev_b32_e32 v19, s21, v2
	v_mad_u64_u32 v[2:3], null, s7, v19, v[1:2]
	s_delay_alu instid0(VALU_DEP_1) | instskip(SKIP_2) | instid1(SALU_CYCLE_1)
	v_add_nc_u16 v2, v2, 3
	global_store_b8 v19, v2, s[12:13]
	s_or_b32 exec_lo, exec_lo, s0
	s_mov_b32 s0, exec_lo
	v_cmpx_eq_u32_e64 s8, v4
	s_cbranch_execz .LBB37_11
.LBB37_19:                              ;   in Loop: Header=BB37_12 Depth=1
	v_add3_u32 v2, v7, v1, 3
	s_delay_alu instid0(VALU_DEP_1) | instskip(NEXT) | instid1(VALU_DEP_1)
	v_lshrrev_b32_e32 v4, s21, v2
	v_mad_u64_u32 v[2:3], null, s7, v4, v[1:2]
	s_delay_alu instid0(VALU_DEP_1)
	v_add_nc_u16 v1, v2, 4
	global_store_b8 v4, v1, s[12:13]
	s_branch .LBB37_11
.LBB37_20:
	s_or_b32 exec_lo, exec_lo, s15
.LBB37_21:
	s_delay_alu instid0(SALU_CYCLE_1)
	s_or_b32 exec_lo, exec_lo, s1
	v_cmp_lt_u32_e32 vcc_lo, 0x5ff, v16
	s_and_b32 exec_lo, exec_lo, vcc_lo
	s_cbranch_execz .LBB37_56
; %bb.22:
	v_lshlrev_b32_e32 v10, 2, v5
	v_mov_b32_e32 v6, 0
	s_mov_b32 s0, 0
	s_sub_i32 s1, 0, s6
	s_delay_alu instid0(VALU_DEP_2) | instskip(NEXT) | instid1(VALU_DEP_2)
	v_add_nc_u32_e32 v7, 0x1803, v10
	v_lshlrev_b64 v[1:2], 4, v[5:6]
	v_add_nc_u32_e32 v6, 0x1802, v10
	v_add_nc_u32_e32 v11, 0x1801, v10
	;; [unrolled: 1-line block ×5, first 2 shown]
	s_waitcnt lgkmcnt(0)
	v_add_co_u32 v8, vcc_lo, s16, v1
	v_add_co_ci_u32_e32 v9, vcc_lo, s17, v2, vcc_lo
	v_add_nc_u32_e32 v15, 0x1001, v10
	v_add_nc_u32_e32 v16, 0x1000, v10
	v_or_b32_e32 v17, 1, v10
	v_or_b32_e32 v18, 2, v10
	;; [unrolled: 1-line block ×3, first 2 shown]
	v_add_nc_u32_e32 v20, 0x803, v10
	v_add_nc_u32_e32 v21, 0x802, v10
	;; [unrolled: 1-line block ×4, first 2 shown]
	s_branch .LBB37_24
.LBB37_23:                              ;   in Loop: Header=BB37_24 Depth=1
	s_or_b32 exec_lo, exec_lo, s6
	v_add_nc_u32_e32 v5, 0x800, v5
	v_add_co_u32 v8, vcc_lo, 0x8000, v8
	v_add_co_ci_u32_e32 v9, vcc_lo, 0, v9, vcc_lo
	s_delay_alu instid0(VALU_DEP_3)
	v_cmp_le_u32_e32 vcc_lo, s4, v5
	v_add_nc_u32_e32 v7, 0x2000, v7
	v_add_nc_u32_e32 v6, 0x2000, v6
	;; [unrolled: 1-line block ×16, first 2 shown]
	s_or_b32 s0, vcc_lo, s0
	s_delay_alu instid0(SALU_CYCLE_1)
	s_and_not1_b32 exec_lo, exec_lo, s0
	s_cbranch_execz .LBB37_56
.LBB37_24:                              ; =>This Inner Loop Header: Depth=1
	global_load_b128 v[1:4], v[8:9], off
	s_mov_b32 s6, exec_lo
	s_waitcnt vmcnt(0)
	v_cmpx_eq_u32_e64 s8, v1
	s_cbranch_execnz .LBB37_43
; %bb.25:                               ;   in Loop: Header=BB37_24 Depth=1
	s_or_b32 exec_lo, exec_lo, s6
	s_delay_alu instid0(SALU_CYCLE_1)
	s_mov_b32 s6, exec_lo
	v_cmpx_eq_u32_e64 s8, v2
	s_cbranch_execnz .LBB37_44
.LBB37_26:                              ;   in Loop: Header=BB37_24 Depth=1
	s_or_b32 exec_lo, exec_lo, s6
	s_delay_alu instid0(SALU_CYCLE_1)
	s_mov_b32 s6, exec_lo
	v_cmpx_eq_u32_e64 s8, v3
	s_cbranch_execnz .LBB37_45
.LBB37_27:                              ;   in Loop: Header=BB37_24 Depth=1
	s_or_b32 exec_lo, exec_lo, s6
	s_delay_alu instid0(SALU_CYCLE_1)
	s_mov_b32 s6, exec_lo
	v_cmpx_eq_u32_e64 s8, v4
	s_cbranch_execz .LBB37_29
.LBB37_28:                              ;   in Loop: Header=BB37_24 Depth=1
	v_mul_hi_u32 v1, s14, v19
	s_delay_alu instid0(VALU_DEP_1) | instskip(NEXT) | instid1(VALU_DEP_1)
	v_add3_u32 v1, v7, v1, 0xffffe800
	v_lshrrev_b32_e32 v3, s21, v1
	s_delay_alu instid0(VALU_DEP_1) | instskip(NEXT) | instid1(VALU_DEP_1)
	v_mad_u64_u32 v[1:2], null, s1, v3, v[7:8]
	v_add_nc_u16 v1, v1, 1
	global_store_b8 v3, v1, s[12:13]
.LBB37_29:                              ;   in Loop: Header=BB37_24 Depth=1
	s_or_b32 exec_lo, exec_lo, s6
	v_add_co_u32 v1, vcc_lo, 0x2000, v8
	v_add_co_ci_u32_e32 v2, vcc_lo, 0, v9, vcc_lo
	s_mov_b32 s6, exec_lo
	global_load_b128 v[1:4], v[1:2], off
	s_waitcnt vmcnt(0)
	v_cmpx_eq_u32_e64 s8, v1
	s_cbranch_execnz .LBB37_46
; %bb.30:                               ;   in Loop: Header=BB37_24 Depth=1
	s_or_b32 exec_lo, exec_lo, s6
	s_delay_alu instid0(SALU_CYCLE_1)
	s_mov_b32 s6, exec_lo
	v_cmpx_eq_u32_e64 s8, v2
	s_cbranch_execnz .LBB37_47
.LBB37_31:                              ;   in Loop: Header=BB37_24 Depth=1
	s_or_b32 exec_lo, exec_lo, s6
	s_delay_alu instid0(SALU_CYCLE_1)
	s_mov_b32 s6, exec_lo
	v_cmpx_eq_u32_e64 s8, v3
	s_cbranch_execnz .LBB37_48
.LBB37_32:                              ;   in Loop: Header=BB37_24 Depth=1
	s_or_b32 exec_lo, exec_lo, s6
	s_delay_alu instid0(SALU_CYCLE_1)
	s_mov_b32 s6, exec_lo
	v_cmpx_eq_u32_e64 s8, v4
	s_cbranch_execz .LBB37_34
.LBB37_33:                              ;   in Loop: Header=BB37_24 Depth=1
	v_mul_hi_u32 v1, s14, v20
	s_delay_alu instid0(VALU_DEP_1) | instskip(NEXT) | instid1(VALU_DEP_1)
	v_add3_u32 v1, v7, v1, 0xfffff000
	v_lshrrev_b32_e32 v3, s21, v1
	s_delay_alu instid0(VALU_DEP_1) | instskip(NEXT) | instid1(VALU_DEP_1)
	v_mad_u64_u32 v[1:2], null, s1, v3, v[7:8]
	v_add_nc_u16 v1, v1, 1
	global_store_b8 v3, v1, s[12:13]
.LBB37_34:                              ;   in Loop: Header=BB37_24 Depth=1
	s_or_b32 exec_lo, exec_lo, s6
	v_add_co_u32 v1, vcc_lo, 0x4000, v8
	v_add_co_ci_u32_e32 v2, vcc_lo, 0, v9, vcc_lo
	s_mov_b32 s6, exec_lo
	global_load_b128 v[1:4], v[1:2], off
	s_waitcnt vmcnt(0)
	v_cmpx_eq_u32_e64 s8, v1
	s_cbranch_execnz .LBB37_49
; %bb.35:                               ;   in Loop: Header=BB37_24 Depth=1
	s_or_b32 exec_lo, exec_lo, s6
	s_delay_alu instid0(SALU_CYCLE_1)
	s_mov_b32 s6, exec_lo
	v_cmpx_eq_u32_e64 s8, v2
	s_cbranch_execnz .LBB37_50
.LBB37_36:                              ;   in Loop: Header=BB37_24 Depth=1
	s_or_b32 exec_lo, exec_lo, s6
	s_delay_alu instid0(SALU_CYCLE_1)
	s_mov_b32 s6, exec_lo
	v_cmpx_eq_u32_e64 s8, v3
	s_cbranch_execnz .LBB37_51
.LBB37_37:                              ;   in Loop: Header=BB37_24 Depth=1
	s_or_b32 exec_lo, exec_lo, s6
	s_delay_alu instid0(SALU_CYCLE_1)
	s_mov_b32 s6, exec_lo
	v_cmpx_eq_u32_e64 s8, v4
	s_cbranch_execz .LBB37_39
.LBB37_38:                              ;   in Loop: Header=BB37_24 Depth=1
	v_mul_hi_u32 v1, s14, v13
	s_delay_alu instid0(VALU_DEP_1) | instskip(NEXT) | instid1(VALU_DEP_1)
	v_add3_u32 v1, v7, v1, 0xfffff800
	v_lshrrev_b32_e32 v3, s21, v1
	s_delay_alu instid0(VALU_DEP_1) | instskip(NEXT) | instid1(VALU_DEP_1)
	v_mad_u64_u32 v[1:2], null, s1, v3, v[7:8]
	v_add_nc_u16 v1, v1, 1
	global_store_b8 v3, v1, s[12:13]
.LBB37_39:                              ;   in Loop: Header=BB37_24 Depth=1
	s_or_b32 exec_lo, exec_lo, s6
	v_add_co_u32 v1, vcc_lo, 0x6000, v8
	v_add_co_ci_u32_e32 v2, vcc_lo, 0, v9, vcc_lo
	s_mov_b32 s6, exec_lo
	global_load_b128 v[1:4], v[1:2], off
	s_waitcnt vmcnt(0)
	v_cmpx_eq_u32_e64 s8, v1
	s_cbranch_execnz .LBB37_52
; %bb.40:                               ;   in Loop: Header=BB37_24 Depth=1
	s_or_b32 exec_lo, exec_lo, s6
	s_delay_alu instid0(SALU_CYCLE_1)
	s_mov_b32 s6, exec_lo
	v_cmpx_eq_u32_e64 s8, v2
	s_cbranch_execnz .LBB37_53
.LBB37_41:                              ;   in Loop: Header=BB37_24 Depth=1
	s_or_b32 exec_lo, exec_lo, s6
	s_delay_alu instid0(SALU_CYCLE_1)
	s_mov_b32 s6, exec_lo
	v_cmpx_eq_u32_e64 s8, v3
	s_cbranch_execnz .LBB37_54
.LBB37_42:                              ;   in Loop: Header=BB37_24 Depth=1
	s_or_b32 exec_lo, exec_lo, s6
	s_delay_alu instid0(SALU_CYCLE_1)
	s_mov_b32 s6, exec_lo
	v_cmpx_eq_u32_e64 s8, v4
	s_cbranch_execz .LBB37_23
	s_branch .LBB37_55
.LBB37_43:                              ;   in Loop: Header=BB37_24 Depth=1
	v_mul_hi_u32 v1, s14, v10
	s_delay_alu instid0(VALU_DEP_1) | instskip(NEXT) | instid1(VALU_DEP_1)
	v_add3_u32 v1, v7, v1, 0xffffe7fd
	v_lshrrev_b32_e32 v1, s21, v1
	s_delay_alu instid0(VALU_DEP_1) | instskip(NEXT) | instid1(VALU_DEP_1)
	v_mad_u64_u32 v[24:25], null, s1, v1, v[7:8]
	v_add_nc_u16 v24, v24, -2
	global_store_b8 v1, v24, s[12:13]
	s_or_b32 exec_lo, exec_lo, s6
	s_delay_alu instid0(SALU_CYCLE_1)
	s_mov_b32 s6, exec_lo
	v_cmpx_eq_u32_e64 s8, v2
	s_cbranch_execz .LBB37_26
.LBB37_44:                              ;   in Loop: Header=BB37_24 Depth=1
	v_mul_hi_u32 v1, s14, v17
	s_delay_alu instid0(VALU_DEP_1) | instskip(NEXT) | instid1(VALU_DEP_1)
	v_add3_u32 v1, v7, v1, 0xffffe7fe
	v_lshrrev_b32_e32 v24, s21, v1
	s_delay_alu instid0(VALU_DEP_1) | instskip(NEXT) | instid1(VALU_DEP_1)
	v_mad_u64_u32 v[1:2], null, s1, v24, v[7:8]
	v_add_nc_u16 v1, v1, -1
	global_store_b8 v24, v1, s[12:13]
	s_or_b32 exec_lo, exec_lo, s6
	s_delay_alu instid0(SALU_CYCLE_1)
	s_mov_b32 s6, exec_lo
	v_cmpx_eq_u32_e64 s8, v3
	s_cbranch_execz .LBB37_27
.LBB37_45:                              ;   in Loop: Header=BB37_24 Depth=1
	v_mul_hi_u32 v1, s14, v18
	s_delay_alu instid0(VALU_DEP_1) | instskip(NEXT) | instid1(VALU_DEP_1)
	v_add3_u32 v1, v7, v1, 0xffffe7ff
	v_lshrrev_b32_e32 v3, s21, v1
	s_delay_alu instid0(VALU_DEP_1) | instskip(SKIP_2) | instid1(SALU_CYCLE_1)
	v_mad_u64_u32 v[1:2], null, s1, v3, v[7:8]
	global_store_b8 v3, v1, s[12:13]
	s_or_b32 exec_lo, exec_lo, s6
	s_mov_b32 s6, exec_lo
	v_cmpx_eq_u32_e64 s8, v4
	s_cbranch_execnz .LBB37_28
	s_branch .LBB37_29
.LBB37_46:                              ;   in Loop: Header=BB37_24 Depth=1
	v_mul_hi_u32 v1, s14, v23
	s_delay_alu instid0(VALU_DEP_1) | instskip(NEXT) | instid1(VALU_DEP_1)
	v_add3_u32 v1, v7, v1, 0xffffeffd
	v_lshrrev_b32_e32 v1, s21, v1
	s_delay_alu instid0(VALU_DEP_1) | instskip(NEXT) | instid1(VALU_DEP_1)
	v_mad_u64_u32 v[24:25], null, s1, v1, v[7:8]
	v_add_nc_u16 v24, v24, -2
	global_store_b8 v1, v24, s[12:13]
	s_or_b32 exec_lo, exec_lo, s6
	s_delay_alu instid0(SALU_CYCLE_1)
	s_mov_b32 s6, exec_lo
	v_cmpx_eq_u32_e64 s8, v2
	s_cbranch_execz .LBB37_31
.LBB37_47:                              ;   in Loop: Header=BB37_24 Depth=1
	v_mul_hi_u32 v1, s14, v22
	s_delay_alu instid0(VALU_DEP_1) | instskip(NEXT) | instid1(VALU_DEP_1)
	v_add3_u32 v1, v7, v1, 0xffffeffe
	v_lshrrev_b32_e32 v24, s21, v1
	s_delay_alu instid0(VALU_DEP_1) | instskip(NEXT) | instid1(VALU_DEP_1)
	v_mad_u64_u32 v[1:2], null, s1, v24, v[7:8]
	v_add_nc_u16 v1, v1, -1
	global_store_b8 v24, v1, s[12:13]
	s_or_b32 exec_lo, exec_lo, s6
	s_delay_alu instid0(SALU_CYCLE_1)
	s_mov_b32 s6, exec_lo
	v_cmpx_eq_u32_e64 s8, v3
	s_cbranch_execz .LBB37_32
.LBB37_48:                              ;   in Loop: Header=BB37_24 Depth=1
	v_mul_hi_u32 v1, s14, v21
	s_delay_alu instid0(VALU_DEP_1) | instskip(NEXT) | instid1(VALU_DEP_1)
	v_add3_u32 v1, v7, v1, 0xffffefff
	v_lshrrev_b32_e32 v3, s21, v1
	s_delay_alu instid0(VALU_DEP_1) | instskip(SKIP_2) | instid1(SALU_CYCLE_1)
	v_mad_u64_u32 v[1:2], null, s1, v3, v[7:8]
	global_store_b8 v3, v1, s[12:13]
	s_or_b32 exec_lo, exec_lo, s6
	s_mov_b32 s6, exec_lo
	v_cmpx_eq_u32_e64 s8, v4
	s_cbranch_execnz .LBB37_33
	s_branch .LBB37_34
.LBB37_49:                              ;   in Loop: Header=BB37_24 Depth=1
	v_mul_hi_u32 v1, s14, v16
	s_delay_alu instid0(VALU_DEP_1) | instskip(NEXT) | instid1(VALU_DEP_1)
	v_add3_u32 v1, v7, v1, 0xfffff7fd
	v_lshrrev_b32_e32 v1, s21, v1
	s_delay_alu instid0(VALU_DEP_1) | instskip(NEXT) | instid1(VALU_DEP_1)
	v_mad_u64_u32 v[24:25], null, s1, v1, v[7:8]
	v_add_nc_u16 v24, v24, -2
	global_store_b8 v1, v24, s[12:13]
	s_or_b32 exec_lo, exec_lo, s6
	s_delay_alu instid0(SALU_CYCLE_1)
	s_mov_b32 s6, exec_lo
	v_cmpx_eq_u32_e64 s8, v2
	s_cbranch_execz .LBB37_36
.LBB37_50:                              ;   in Loop: Header=BB37_24 Depth=1
	v_mul_hi_u32 v1, s14, v15
	s_delay_alu instid0(VALU_DEP_1) | instskip(NEXT) | instid1(VALU_DEP_1)
	v_add3_u32 v1, v7, v1, 0xfffff7fe
	v_lshrrev_b32_e32 v24, s21, v1
	s_delay_alu instid0(VALU_DEP_1) | instskip(NEXT) | instid1(VALU_DEP_1)
	v_mad_u64_u32 v[1:2], null, s1, v24, v[7:8]
	v_add_nc_u16 v1, v1, -1
	global_store_b8 v24, v1, s[12:13]
	s_or_b32 exec_lo, exec_lo, s6
	s_delay_alu instid0(SALU_CYCLE_1)
	s_mov_b32 s6, exec_lo
	v_cmpx_eq_u32_e64 s8, v3
	s_cbranch_execz .LBB37_37
.LBB37_51:                              ;   in Loop: Header=BB37_24 Depth=1
	v_mul_hi_u32 v1, s14, v14
	s_delay_alu instid0(VALU_DEP_1) | instskip(NEXT) | instid1(VALU_DEP_1)
	v_add3_u32 v1, v7, v1, 0xfffff7ff
	v_lshrrev_b32_e32 v3, s21, v1
	s_delay_alu instid0(VALU_DEP_1) | instskip(SKIP_2) | instid1(SALU_CYCLE_1)
	v_mad_u64_u32 v[1:2], null, s1, v3, v[7:8]
	global_store_b8 v3, v1, s[12:13]
	s_or_b32 exec_lo, exec_lo, s6
	s_mov_b32 s6, exec_lo
	v_cmpx_eq_u32_e64 s8, v4
	s_cbranch_execnz .LBB37_38
	s_branch .LBB37_39
.LBB37_52:                              ;   in Loop: Header=BB37_24 Depth=1
	v_mul_hi_u32 v1, s14, v12
	s_delay_alu instid0(VALU_DEP_1) | instskip(NEXT) | instid1(VALU_DEP_1)
	v_add3_u32 v1, v7, v1, -3
	v_lshrrev_b32_e32 v1, s21, v1
	s_delay_alu instid0(VALU_DEP_1) | instskip(NEXT) | instid1(VALU_DEP_1)
	v_mad_u64_u32 v[24:25], null, s1, v1, v[7:8]
	v_add_nc_u16 v24, v24, -2
	global_store_b8 v1, v24, s[12:13]
	s_or_b32 exec_lo, exec_lo, s6
	s_delay_alu instid0(SALU_CYCLE_1)
	s_mov_b32 s6, exec_lo
	v_cmpx_eq_u32_e64 s8, v2
	s_cbranch_execz .LBB37_41
.LBB37_53:                              ;   in Loop: Header=BB37_24 Depth=1
	v_mul_hi_u32 v1, s14, v11
	s_delay_alu instid0(VALU_DEP_1) | instskip(NEXT) | instid1(VALU_DEP_1)
	v_add3_u32 v1, v7, v1, -2
	v_lshrrev_b32_e32 v24, s21, v1
	s_delay_alu instid0(VALU_DEP_1) | instskip(NEXT) | instid1(VALU_DEP_1)
	v_mad_u64_u32 v[1:2], null, s1, v24, v[7:8]
	v_add_nc_u16 v1, v1, -1
	global_store_b8 v24, v1, s[12:13]
	s_or_b32 exec_lo, exec_lo, s6
	s_delay_alu instid0(SALU_CYCLE_1)
	s_mov_b32 s6, exec_lo
	v_cmpx_eq_u32_e64 s8, v3
	s_cbranch_execz .LBB37_42
.LBB37_54:                              ;   in Loop: Header=BB37_24 Depth=1
	v_mul_hi_u32 v1, s14, v6
	s_delay_alu instid0(VALU_DEP_1) | instskip(NEXT) | instid1(VALU_DEP_1)
	v_add3_u32 v1, v7, v1, -1
	v_lshrrev_b32_e32 v3, s21, v1
	s_delay_alu instid0(VALU_DEP_1) | instskip(SKIP_2) | instid1(SALU_CYCLE_1)
	v_mad_u64_u32 v[1:2], null, s1, v3, v[7:8]
	global_store_b8 v3, v1, s[12:13]
	s_or_b32 exec_lo, exec_lo, s6
	s_mov_b32 s6, exec_lo
	v_cmpx_eq_u32_e64 s8, v4
	s_cbranch_execz .LBB37_23
.LBB37_55:                              ;   in Loop: Header=BB37_24 Depth=1
	v_mul_hi_u32 v1, s14, v7
	s_delay_alu instid0(VALU_DEP_1) | instskip(NEXT) | instid1(VALU_DEP_1)
	v_add_nc_u32_e32 v1, v7, v1
	v_lshrrev_b32_e32 v3, s21, v1
	s_delay_alu instid0(VALU_DEP_1) | instskip(NEXT) | instid1(VALU_DEP_1)
	v_mad_u64_u32 v[1:2], null, s1, v3, v[7:8]
	v_add_nc_u16 v1, v1, 1
	global_store_b8 v3, v1, s[12:13]
	s_branch .LBB37_23
.LBB37_56:
	s_or_b32 exec_lo, exec_lo, s22
	v_mov_b32_e32 v3, 0
	s_cmp_lt_i32 s5, 4
	s_waitcnt lgkmcnt(0)
	s_waitcnt_vscnt null, 0x0
	s_barrier
	buffer_gl0_inv
	s_cbranch_scc1 .LBB37_61
; %bb.57:
	s_ashr_i32 s0, s5, 31
	v_mbcnt_lo_u32_b32 v1, -1, 0
	s_lshr_b32 s0, s0, 30
	v_mov_b32_e32 v3, 0
	s_add_i32 s0, s5, s0
	v_mov_b32_e32 v9, v0
	v_lshlrev_b32_e32 v1, 2, v1
	s_ashr_i32 s0, s0, 2
	s_delay_alu instid0(SALU_CYCLE_1) | instskip(NEXT) | instid1(SALU_CYCLE_1)
	s_add_i32 s1, s0, 0x1ff
	s_lshr_b32 s1, s1, 9
	s_delay_alu instid0(VALU_DEP_1)
	v_xor_b32_e32 v4, 4, v1
	v_xor_b32_e32 v5, 8, v1
	;; [unrolled: 1-line block ×5, first 2 shown]
	v_lshlrev_b32_e32 v1, 2, v0
	s_max_u32 s1, s1, 1
	s_add_u32 s4, s10, s9
	s_addc_u32 s5, s11, s20
	s_delay_alu instid0(VALU_DEP_1) | instskip(NEXT) | instid1(VALU_DEP_1)
	v_add_co_u32 v1, s4, s4, v1
	v_add_co_ci_u32_e64 v2, null, s5, 0, s4
	s_branch .LBB37_59
.LBB37_58:                              ;   in Loop: Header=BB37_59 Depth=1
	s_or_b32 exec_lo, exec_lo, s4
	s_waitcnt vmcnt(0)
	v_lshrrev_b32_e32 v11, 8, v10
	v_lshrrev_b32_e32 v12, 16, v10
	v_and_b32_e32 v13, 0xff, v10
	v_lshrrev_b32_e32 v10, 24, v10
	v_add_nc_u32_e32 v9, 0x200, v9
	v_and_b32_e32 v11, 0xff, v11
	v_and_b32_e32 v12, 0xff, v12
	s_add_i32 s1, s1, -1
	s_delay_alu instid0(SALU_CYCLE_1) | instskip(NEXT) | instid1(VALU_DEP_2)
	s_cmp_eq_u32 s1, 0
	v_cmp_ne_u16_e32 vcc_lo, 0, v11
	v_cndmask_b32_e64 v11, 0, 1, vcc_lo
	v_cmp_ne_u16_e32 vcc_lo, 0, v12
	v_cndmask_b32_e64 v12, 0, 1, vcc_lo
	v_cmp_ne_u16_e32 vcc_lo, 0, v13
	s_delay_alu instid0(VALU_DEP_4) | instskip(SKIP_1) | instid1(VALU_DEP_2)
	v_add_co_ci_u32_e32 v11, vcc_lo, 0, v11, vcc_lo
	v_cmp_ne_u16_e32 vcc_lo, 0, v10
	v_add_co_ci_u32_e32 v10, vcc_lo, v11, v12, vcc_lo
	v_add_co_u32 v1, vcc_lo, 0x800, v1
	v_add_co_ci_u32_e32 v2, vcc_lo, 0, v2, vcc_lo
	ds_bpermute_b32 v11, v4, v10
	s_waitcnt lgkmcnt(0)
	v_add_nc_u32_e32 v10, v10, v11
	ds_bpermute_b32 v11, v5, v10
	s_waitcnt lgkmcnt(0)
	v_add_nc_u32_e32 v10, v10, v11
	;; [unrolled: 3-line block ×4, first 2 shown]
	ds_bpermute_b32 v11, v8, v10
	s_waitcnt lgkmcnt(0)
	v_add3_u32 v3, v11, v3, v10
	s_cbranch_scc1 .LBB37_61
.LBB37_59:                              ; =>This Inner Loop Header: Depth=1
	v_mov_b32_e32 v10, 0
	s_mov_b32 s4, exec_lo
	v_cmpx_gt_i32_e64 s0, v9
	s_cbranch_execz .LBB37_58
; %bb.60:                               ;   in Loop: Header=BB37_59 Depth=1
	global_load_b32 v10, v[1:2], off
	s_branch .LBB37_58
.LBB37_61:
	v_and_b32_e32 v1, 31, v0
	s_mov_b32 s0, exec_lo
	s_delay_alu instid0(VALU_DEP_1)
	v_cmpx_eq_u32_e32 0, v1
	s_cbranch_execz .LBB37_63
; %bb.62:
	v_lshrrev_b32_e32 v1, 3, v0
	s_delay_alu instid0(VALU_DEP_1)
	v_and_b32_e32 v1, 0x7c, v1
	ds_store_b32 v1, v3
.LBB37_63:
	s_or_b32 exec_lo, exec_lo, s0
	s_waitcnt lgkmcnt(0)
	s_barrier
	buffer_gl0_inv
	s_mov_b32 s0, exec_lo
	v_cmpx_eq_u32_e32 0, v0
	s_cbranch_execz .LBB37_65
; %bb.64:
	v_mov_b32_e32 v8, 0
	s_ashr_i32 s9, s8, 31
	ds_load_b128 v[0:3], v8
	ds_load_b128 v[4:7], v8 offset:16
	s_lshl_b64 s[0:1], s[8:9], 2
	s_delay_alu instid0(SALU_CYCLE_1) | instskip(SKIP_3) | instid1(VALU_DEP_1)
	s_add_u32 s0, s2, s0
	s_addc_u32 s1, s3, s1
	s_waitcnt lgkmcnt(1)
	v_add_nc_u32_e32 v0, v1, v0
	v_add_nc_u32_e32 v0, v0, v2
	s_delay_alu instid0(VALU_DEP_1) | instskip(SKIP_1) | instid1(VALU_DEP_1)
	v_add_nc_u32_e32 v0, v0, v3
	s_waitcnt lgkmcnt(0)
	v_add_nc_u32_e32 v4, v0, v4
	s_delay_alu instid0(VALU_DEP_1) | instskip(NEXT) | instid1(VALU_DEP_1)
	v_add_nc_u32_e32 v4, v4, v5
	v_add_nc_u32_e32 v4, v4, v6
	s_delay_alu instid0(VALU_DEP_1) | instskip(SKIP_4) | instid1(VALU_DEP_1)
	v_add_nc_u32_e32 v9, v4, v7
	ds_load_b128 v[0:3], v8 offset:32
	ds_load_b128 v[4:7], v8 offset:48
	s_waitcnt lgkmcnt(1)
	v_add_nc_u32_e32 v0, v9, v0
	v_add_nc_u32_e32 v0, v0, v1
	s_delay_alu instid0(VALU_DEP_1) | instskip(NEXT) | instid1(VALU_DEP_1)
	v_add_nc_u32_e32 v0, v0, v2
	v_add_nc_u32_e32 v0, v0, v3
	s_waitcnt lgkmcnt(0)
	s_delay_alu instid0(VALU_DEP_1) | instskip(NEXT) | instid1(VALU_DEP_1)
	v_add_nc_u32_e32 v0, v0, v4
	v_add_nc_u32_e32 v0, v0, v5
	s_delay_alu instid0(VALU_DEP_1) | instskip(NEXT) | instid1(VALU_DEP_1)
	v_add_nc_u32_e32 v0, v0, v6
	v_add_nc_u32_e32 v0, v0, v7
	global_store_b32 v8, v0, s[0:1]
.LBB37_65:
	s_nop 0
	s_sendmsg sendmsg(MSG_DEALLOC_VGPRS)
	s_endpgm
	.section	.rodata,"a",@progbits
	.p2align	6, 0x0
	.amdhsa_kernel _ZN5aiter22opus_moe_sorting_entryINS_32MoeSortingMultiPhaseKernel_P0_v2INS_19MoeSortingProblemMpIifhLi4ELb1ELb0ELb1EEEEENS4_5KargsEEEvT0_
		.amdhsa_group_segment_fixed_size 64
		.amdhsa_private_segment_fixed_size 0
		.amdhsa_kernarg_size 72
		.amdhsa_user_sgpr_count 15
		.amdhsa_user_sgpr_dispatch_ptr 0
		.amdhsa_user_sgpr_queue_ptr 0
		.amdhsa_user_sgpr_kernarg_segment_ptr 1
		.amdhsa_user_sgpr_dispatch_id 0
		.amdhsa_user_sgpr_private_segment_size 0
		.amdhsa_wavefront_size32 1
		.amdhsa_uses_dynamic_stack 0
		.amdhsa_enable_private_segment 0
		.amdhsa_system_sgpr_workgroup_id_x 1
		.amdhsa_system_sgpr_workgroup_id_y 0
		.amdhsa_system_sgpr_workgroup_id_z 0
		.amdhsa_system_sgpr_workgroup_info 0
		.amdhsa_system_vgpr_workitem_id 0
		.amdhsa_next_free_vgpr 26
		.amdhsa_next_free_sgpr 24
		.amdhsa_reserve_vcc 1
		.amdhsa_float_round_mode_32 0
		.amdhsa_float_round_mode_16_64 0
		.amdhsa_float_denorm_mode_32 3
		.amdhsa_float_denorm_mode_16_64 3
		.amdhsa_dx10_clamp 1
		.amdhsa_ieee_mode 1
		.amdhsa_fp16_overflow 0
		.amdhsa_workgroup_processor_mode 1
		.amdhsa_memory_ordered 1
		.amdhsa_forward_progress 0
		.amdhsa_shared_vgpr_count 0
		.amdhsa_exception_fp_ieee_invalid_op 0
		.amdhsa_exception_fp_denorm_src 0
		.amdhsa_exception_fp_ieee_div_zero 0
		.amdhsa_exception_fp_ieee_overflow 0
		.amdhsa_exception_fp_ieee_underflow 0
		.amdhsa_exception_fp_ieee_inexact 0
		.amdhsa_exception_int_div_zero 0
	.end_amdhsa_kernel
	.section	.text._ZN5aiter22opus_moe_sorting_entryINS_32MoeSortingMultiPhaseKernel_P0_v2INS_19MoeSortingProblemMpIifhLi4ELb1ELb0ELb1EEEEENS4_5KargsEEEvT0_,"axG",@progbits,_ZN5aiter22opus_moe_sorting_entryINS_32MoeSortingMultiPhaseKernel_P0_v2INS_19MoeSortingProblemMpIifhLi4ELb1ELb0ELb1EEEEENS4_5KargsEEEvT0_,comdat
.Lfunc_end37:
	.size	_ZN5aiter22opus_moe_sorting_entryINS_32MoeSortingMultiPhaseKernel_P0_v2INS_19MoeSortingProblemMpIifhLi4ELb1ELb0ELb1EEEEENS4_5KargsEEEvT0_, .Lfunc_end37-_ZN5aiter22opus_moe_sorting_entryINS_32MoeSortingMultiPhaseKernel_P0_v2INS_19MoeSortingProblemMpIifhLi4ELb1ELb0ELb1EEEEENS4_5KargsEEEvT0_
                                        ; -- End function
	.section	.AMDGPU.csdata,"",@progbits
; Kernel info:
; codeLenInByte = 3868
; NumSgprs: 26
; NumVgprs: 26
; ScratchSize: 0
; MemoryBound: 0
; FloatMode: 240
; IeeeMode: 1
; LDSByteSize: 64 bytes/workgroup (compile time only)
; SGPRBlocks: 3
; VGPRBlocks: 3
; NumSGPRsForWavesPerEU: 26
; NumVGPRsForWavesPerEU: 26
; Occupancy: 16
; WaveLimiterHint : 0
; COMPUTE_PGM_RSRC2:SCRATCH_EN: 0
; COMPUTE_PGM_RSRC2:USER_SGPR: 15
; COMPUTE_PGM_RSRC2:TRAP_HANDLER: 0
; COMPUTE_PGM_RSRC2:TGID_X_EN: 1
; COMPUTE_PGM_RSRC2:TGID_Y_EN: 0
; COMPUTE_PGM_RSRC2:TGID_Z_EN: 0
; COMPUTE_PGM_RSRC2:TIDIG_COMP_CNT: 0
	.section	.text._ZN5aiter22opus_moe_sorting_entryINS_30MoeSortingMultiPhaseKernel_P23INS_19MoeSortingProblemMpIifhLi16ELb1ELb0ELb1EEEEENS4_5KargsEEEvT0_,"axG",@progbits,_ZN5aiter22opus_moe_sorting_entryINS_30MoeSortingMultiPhaseKernel_P23INS_19MoeSortingProblemMpIifhLi16ELb1ELb0ELb1EEEEENS4_5KargsEEEvT0_,comdat
	.protected	_ZN5aiter22opus_moe_sorting_entryINS_30MoeSortingMultiPhaseKernel_P23INS_19MoeSortingProblemMpIifhLi16ELb1ELb0ELb1EEEEENS4_5KargsEEEvT0_ ; -- Begin function _ZN5aiter22opus_moe_sorting_entryINS_30MoeSortingMultiPhaseKernel_P23INS_19MoeSortingProblemMpIifhLi16ELb1ELb0ELb1EEEEENS4_5KargsEEEvT0_
	.globl	_ZN5aiter22opus_moe_sorting_entryINS_30MoeSortingMultiPhaseKernel_P23INS_19MoeSortingProblemMpIifhLi16ELb1ELb0ELb1EEEEENS4_5KargsEEEvT0_
	.p2align	8
	.type	_ZN5aiter22opus_moe_sorting_entryINS_30MoeSortingMultiPhaseKernel_P23INS_19MoeSortingProblemMpIifhLi16ELb1ELb0ELb1EEEEENS4_5KargsEEEvT0_,@function
_ZN5aiter22opus_moe_sorting_entryINS_30MoeSortingMultiPhaseKernel_P23INS_19MoeSortingProblemMpIifhLi16ELb1ELb0ELb1EEEEENS4_5KargsEEEvT0_: ; @_ZN5aiter22opus_moe_sorting_entryINS_30MoeSortingMultiPhaseKernel_P23INS_19MoeSortingProblemMpIifhLi16ELb1ELb0ELb1EEEEENS4_5KargsEEEvT0_
; %bb.0:
	s_clause 0x1
	s_load_b128 s[28:31], s[0:1], 0x60
	s_load_b512 s[36:51], s[0:1], 0x20
	s_mov_b32 s12, s15
	s_mov_b32 s3, -1
	s_waitcnt lgkmcnt(0)
	s_cmp_lt_i32 s15, s29
	s_cbranch_scc1 .LBB38_5
; %bb.1:
	s_load_b64 s[2:3], s[0:1], 0x84
	v_mov_b32_e32 v2, 0
	s_mov_b32 s10, exec_lo
	s_waitcnt lgkmcnt(0)
	s_ashr_i32 s4, s2, 31
	s_mul_i32 s5, s3, s28
	s_mul_hi_i32 s3, s3, s28
	s_mul_i32 s4, s5, s4
	s_mul_hi_u32 s6, s5, s2
	s_mul_i32 s3, s3, s2
	s_add_i32 s4, s6, s4
	s_mul_i32 s5, s5, s2
	s_add_i32 s4, s4, s3
	s_sub_i32 s3, s12, s29
	s_ashr_i32 s6, s4, 31
	v_lshl_add_u32 v1, s3, 8, v0
	s_lshr_b32 s2, s6, 28
	s_delay_alu instid0(SALU_CYCLE_1) | instskip(SKIP_1) | instid1(SALU_CYCLE_1)
	s_add_u32 s2, s5, s2
	s_addc_u32 s3, s4, 0
	s_ashr_i64 s[4:5], s[2:3], 4
	s_mov_b32 s3, 0
	v_cmpx_gt_i64_e64 s[4:5], v[1:2]
	s_cbranch_execz .LBB38_4
; %bb.2:
	s_load_b32 s2, s[0:1], 0x90
	v_lshlrev_b64 v[7:8], 4, v[1:2]
	v_dual_mov_b32 v6, v2 :: v_dual_mov_b32 v5, v1
	v_mov_b32_e32 v1, v2
	v_mov_b32_e32 v3, v2
	;; [unrolled: 1-line block ×3, first 2 shown]
	v_add_co_u32 v7, vcc_lo, s48, v7
	v_add_co_ci_u32_e32 v8, vcc_lo, s49, v8, vcc_lo
	s_mov_b32 s11, 0
	s_waitcnt lgkmcnt(0)
	s_sub_i32 s2, s2, s29
	s_delay_alu instid0(SALU_CYCLE_1) | instskip(NEXT) | instid1(SALU_CYCLE_1)
	s_lshl_b32 s6, s2, 8
	s_ashr_i32 s7, s6, 31
	s_delay_alu instid0(SALU_CYCLE_1)
	s_lshl_b64 s[8:9], s[6:7], 4
.LBB38_3:                               ; =>This Inner Loop Header: Depth=1
	v_add_co_u32 v5, vcc_lo, v5, s6
	v_add_co_ci_u32_e32 v6, vcc_lo, s7, v6, vcc_lo
	global_store_b128 v[7:8], v[1:4], off
	v_add_co_u32 v7, s2, v7, s8
	v_cmp_le_i64_e32 vcc_lo, s[4:5], v[5:6]
	v_add_co_ci_u32_e64 v8, s2, s9, v8, s2
	s_or_b32 s11, vcc_lo, s11
	s_delay_alu instid0(SALU_CYCLE_1)
	s_and_not1_b32 exec_lo, exec_lo, s11
	s_cbranch_execnz .LBB38_3
.LBB38_4:
	s_or_b32 exec_lo, exec_lo, s10
.LBB38_5:
	s_delay_alu instid0(SALU_CYCLE_1)
	s_and_not1_b32 vcc_lo, exec_lo, s3
	s_cbranch_vccnz .LBB38_80
; %bb.6:
	s_clause 0x2
	s_load_b128 s[24:27], s[0:1], 0x70
	s_load_b128 s[52:55], s[0:1], 0x0
	s_load_b64 s[14:15], s[0:1], 0x10
	s_lshl_b32 s0, s29, 2
	v_lshrrev_b32_e32 v7, 5, v0
	s_add_i32 s11, s0, 0
	v_and_b32_e32 v8, 31, v0
	s_addk_i32 s11, 0x50
	s_cmp_lt_i32 s29, 1
	s_mov_b32 s13, 0
	s_cbranch_scc1 .LBB38_22
; %bb.7:
	v_mbcnt_lo_u32_b32 v1, -1, 0
	s_add_i32 s7, s29, 0xff
	s_add_i32 s16, s31, -1
	s_lshr_b32 s17, s7, 8
	s_cmp_lg_u64 s[50:51], 0
	v_dual_mov_b32 v9, 0 :: v_dual_lshlrev_b32 v2, 2, v1
	v_cmp_eq_u32_e64 s0, 31, v8
	v_lshl_add_u32 v5, v7, 2, 0
	v_cmp_gt_u32_e64 s1, 32, v0
	s_delay_alu instid0(VALU_DEP_4)
	v_and_b32_e32 v2, 64, v2
	v_cmp_lt_u32_e64 s2, 63, v0
	v_cmp_lt_u32_e64 s3, 0x5f, v0
	;; [unrolled: 1-line block ×6, first 2 shown]
	v_add_nc_u32_e32 v6, -4, v2
	v_cmp_lt_u32_e64 s8, 0xdf, v0
	v_cmp_eq_u32_e64 s9, 0xff, v0
	v_mov_b32_e32 v10, 0
	v_mov_b32_e32 v2, 0
	s_cselect_b32 s18, -1, 0
	s_cmp_eq_u32 s12, 0
	s_cselect_b32 s19, -1, 0
	s_add_i32 s20, s11, 4
.LBB38_8:                               ; =>This Loop Header: Depth=1
                                        ;     Child Loop BB38_19 Depth 2
	v_lshl_add_u32 v3, s13, 8, v0
	v_dual_mov_b32 v4, 0 :: v_dual_mov_b32 v1, 0
	s_delay_alu instid0(VALU_DEP_2)
	v_cmp_gt_i32_e32 vcc_lo, s29, v3
	s_and_saveexec_b32 s21, vcc_lo
	s_cbranch_execz .LBB38_10
; %bb.9:                                ;   in Loop: Header=BB38_8 Depth=1
	v_ashrrev_i32_e32 v4, 31, v3
	s_delay_alu instid0(VALU_DEP_1) | instskip(NEXT) | instid1(VALU_DEP_1)
	v_lshlrev_b64 v[11:12], 2, v[3:4]
	v_add_co_u32 v13, s10, s38, v11
	s_delay_alu instid0(VALU_DEP_1) | instskip(SKIP_2) | instid1(VALU_DEP_1)
	v_add_co_ci_u32_e64 v14, s10, s39, v12, s10
	s_waitcnt lgkmcnt(0)
	v_add_co_u32 v11, s10, s14, v11
	v_add_co_ci_u32_e64 v12, s10, s15, v12, s10
	global_load_b32 v1, v[13:14], off
	global_load_b32 v4, v[11:12], off
.LBB38_10:                              ;   in Loop: Header=BB38_8 Depth=1
	s_or_b32 exec_lo, exec_lo, s21
	s_waitcnt vmcnt(1)
	v_add_nc_u32_e32 v1, s16, v1
	s_waitcnt vmcnt(0)
	v_cmp_eq_u32_e64 s10, 0, v4
	v_add_nc_u32_dpp v15, v4, v4 row_shr:1 row_mask:0xf bank_mask:0xf bound_ctrl:1
	s_waitcnt lgkmcnt(0)
	s_waitcnt_vscnt null, 0x0
	s_barrier
	v_mul_hi_u32 v11, v1, s24
	buffer_gl0_inv
	v_add_nc_u32_dpp v16, v15, v15 row_shr:2 row_mask:0xf bank_mask:0xf bound_ctrl:1
	s_delay_alu instid0(VALU_DEP_1) | instskip(SKIP_1) | instid1(VALU_DEP_2)
	v_add_nc_u32_dpp v16, v16, v16 row_shr:4 row_mask:0xf bank_mask:0xf bound_ctrl:1
	v_add_nc_u32_e32 v1, v1, v11
	v_add_nc_u32_dpp v18, v16, v16 row_shr:8 row_mask:0xf bank_mask:0xf bound_ctrl:1
	s_delay_alu instid0(VALU_DEP_2) | instskip(SKIP_2) | instid1(VALU_DEP_1)
	v_lshrrev_b32_e32 v11, s25, v1
	ds_bpermute_b32 v19, v6, v18
	v_cndmask_b32_e64 v17, v11, 0, s10
	v_mov_b32_dpp v12, v17 row_shr:1 row_mask:0xf bank_mask:0xf bound_ctrl:1
	s_delay_alu instid0(VALU_DEP_1) | instskip(NEXT) | instid1(VALU_DEP_1)
	v_add_nc_u32_e32 v1, v17, v12
	v_mov_b32_dpp v13, v1 row_shr:2 row_mask:0xf bank_mask:0xf bound_ctrl:1
	s_waitcnt lgkmcnt(0)
	v_cndmask_b32_e64 v19, 0, v19, s7
	s_delay_alu instid0(VALU_DEP_2) | instskip(NEXT) | instid1(VALU_DEP_1)
	v_add_nc_u32_e32 v1, v1, v13
	v_mov_b32_dpp v14, v1 row_shr:4 row_mask:0xf bank_mask:0xf bound_ctrl:1
	s_delay_alu instid0(VALU_DEP_1) | instskip(NEXT) | instid1(VALU_DEP_1)
	v_add_nc_u32_e32 v1, v1, v14
	v_mov_b32_dpp v15, v1 row_shr:8 row_mask:0xf bank_mask:0xf bound_ctrl:1
	s_delay_alu instid0(VALU_DEP_1) | instskip(SKIP_3) | instid1(VALU_DEP_1)
	v_add_nc_u32_e32 v1, v1, v15
	ds_bpermute_b32 v16, v6, v1
	s_waitcnt lgkmcnt(0)
	v_cndmask_b32_e64 v16, 0, v16, s7
	v_add_nc_u32_e32 v20, v1, v16
	v_add_nc_u32_e32 v1, v19, v18
	s_and_saveexec_b32 s21, s0
	s_cbranch_execz .LBB38_12
; %bb.11:                               ;   in Loop: Header=BB38_8 Depth=1
	ds_store_2addr_b32 v5, v20, v1 offset0:4 offset1:12
.LBB38_12:                              ;   in Loop: Header=BB38_8 Depth=1
	s_or_b32 exec_lo, exec_lo, s21
	s_waitcnt lgkmcnt(0)
	s_barrier
	buffer_gl0_inv
	ds_load_2addr_b32 v[18:19], v9 offset0:4 offset1:5
	ds_load_2addr_b32 v[21:22], v9 offset0:12 offset1:13
	ds_load_2addr_b32 v[23:24], v9 offset0:6 offset1:7
	ds_load_2addr_b32 v[25:26], v9 offset0:14 offset1:15
	ds_load_2addr_b32 v[27:28], v9 offset0:8 offset1:9
	ds_load_2addr_b32 v[29:30], v9 offset0:16 offset1:17
	ds_load_2addr_b32 v[31:32], v9 offset0:10 offset1:18
	s_waitcnt lgkmcnt(6)
	v_cndmask_b32_e64 v18, v18, 0, s1
	s_waitcnt lgkmcnt(5)
	v_cndmask_b32_e64 v33, v21, 0, s1
	v_cndmask_b32_e64 v19, 0, v19, s2
	;; [unrolled: 1-line block ×3, first 2 shown]
	s_waitcnt lgkmcnt(4)
	v_cndmask_b32_e64 v21, 0, v23, s3
	s_waitcnt lgkmcnt(3)
	v_cndmask_b32_e64 v25, 0, v25, s3
	v_add3_u32 v20, v20, v10, v18
	v_add3_u32 v1, v1, v2, v33
	v_cndmask_b32_e64 v22, 0, v24, s4
	v_cndmask_b32_e64 v26, 0, v26, s4
	s_waitcnt lgkmcnt(2)
	v_cndmask_b32_e64 v23, 0, v27, s5
	s_waitcnt lgkmcnt(1)
	v_cndmask_b32_e64 v2, 0, v29, s5
	v_add3_u32 v20, v20, v19, v21
	v_add3_u32 v1, v1, v34, v25
	v_cndmask_b32_e64 v24, 0, v28, s6
	v_cndmask_b32_e64 v27, 0, v30, s6
	s_waitcnt lgkmcnt(0)
	v_cndmask_b32_e64 v25, 0, v31, s8
	v_cndmask_b32_e64 v28, 0, v32, s8
	v_add3_u32 v20, v20, v22, v23
	v_add3_u32 v1, v1, v26, v2
	s_delay_alu instid0(VALU_DEP_2) | instskip(NEXT) | instid1(VALU_DEP_2)
	v_add3_u32 v26, v20, v24, v25
	v_add3_u32 v20, v1, v27, v28
	s_and_saveexec_b32 s21, s9
	s_cbranch_execz .LBB38_14
; %bb.13:                               ;   in Loop: Header=BB38_8 Depth=1
	ds_store_2addr_b32 v9, v26, v20 offset0:2 offset1:3
.LBB38_14:                              ;   in Loop: Header=BB38_8 Depth=1
	s_or_b32 exec_lo, exec_lo, s21
	s_waitcnt lgkmcnt(0)
	s_barrier
	buffer_gl0_inv
	ds_load_2addr_b32 v[1:2], v9 offset0:2 offset1:3
	v_sub_nc_u32_e32 v20, v20, v4
	s_and_saveexec_b32 s21, vcc_lo
	s_cbranch_execz .LBB38_17
; %bb.15:                               ;   in Loop: Header=BB38_8 Depth=1
	v_sub_nc_u32_e32 v17, v26, v17
	v_lshl_add_u32 v26, v3, 2, 0
	s_and_not1_b32 vcc_lo, exec_lo, s18
	s_delay_alu instid0(VALU_DEP_2)
	v_mul_lo_u32 v17, v17, s31
	ds_store_b32 v26, v17 offset:80
	s_cbranch_vccnz .LBB38_17
; %bb.16:                               ;   in Loop: Header=BB38_8 Depth=1
	v_cndmask_b32_e64 v17, v20, -1, s10
	v_lshl_add_u32 v3, v3, 2, s20
	ds_store_b32 v3, v17
.LBB38_17:                              ;   in Loop: Header=BB38_8 Depth=1
	s_or_b32 exec_lo, exec_lo, s21
	v_cmp_ne_u32_e32 vcc_lo, 0, v4
	v_cmp_lt_i32_e64 s10, 0, v11
	s_and_b32 s21, s19, vcc_lo
	s_delay_alu instid0(VALU_DEP_1) | instid1(SALU_CYCLE_1)
	s_and_b32 s10, s21, s10
	s_delay_alu instid0(SALU_CYCLE_1)
	s_and_saveexec_b32 s21, s10
	s_cbranch_execz .LBB38_20
; %bb.18:                               ;   in Loop: Header=BB38_8 Depth=1
	v_add3_u32 v3, v16, v19, v21
	s_mov_b32 s22, 0
	s_delay_alu instid0(VALU_DEP_1) | instskip(NEXT) | instid1(VALU_DEP_1)
	v_add3_u32 v3, v3, v22, v23
	v_add3_u32 v3, v3, v24, v25
	s_delay_alu instid0(VALU_DEP_1) | instskip(NEXT) | instid1(VALU_DEP_1)
	v_add3_u32 v3, v3, v18, v12
	v_add3_u32 v3, v3, v13, v14
	s_delay_alu instid0(VALU_DEP_1)
	v_add3_u32 v3, v3, v15, v10
.LBB38_19:                              ;   Parent Loop BB38_8 Depth=1
                                        ; =>  This Inner Loop Header: Depth=2
	s_delay_alu instid0(VALU_DEP_1) | instskip(SKIP_1) | instid1(VALU_DEP_2)
	v_ashrrev_i32_e32 v4, 31, v3
	v_add_nc_u32_e32 v11, -1, v11
	v_lshlrev_b64 v[12:13], 2, v[3:4]
	s_delay_alu instid0(VALU_DEP_2) | instskip(SKIP_2) | instid1(VALU_DEP_3)
	v_cmp_eq_u32_e32 vcc_lo, 0, v11
	v_add_nc_u32_e32 v3, 1, v3
	s_or_b32 s22, vcc_lo, s22
	v_add_co_u32 v12, s10, s42, v12
	s_delay_alu instid0(VALU_DEP_1)
	v_add_co_ci_u32_e64 v13, s10, s43, v13, s10
	global_store_b32 v[12:13], v20, off
	s_and_not1_b32 exec_lo, exec_lo, s22
	s_cbranch_execnz .LBB38_19
.LBB38_20:                              ;   in Loop: Header=BB38_8 Depth=1
	s_or_b32 exec_lo, exec_lo, s21
	s_add_i32 s13, s13, 1
	s_delay_alu instid0(SALU_CYCLE_1)
	s_cmp_eq_u32 s13, s17
	s_cbranch_scc1 .LBB38_23
; %bb.21:                               ;   in Loop: Header=BB38_8 Depth=1
	s_waitcnt lgkmcnt(0)
	v_mov_b32_e32 v10, v1
	s_branch .LBB38_8
.LBB38_22:
	v_mov_b32_e32 v1, 0
.LBB38_23:
	s_mov_b32 s0, exec_lo
	v_cmpx_eq_u32_e32 0, v0
	s_cbranch_execz .LBB38_27
; %bb.24:
	s_waitcnt lgkmcnt(0)
	v_mul_lo_u32 v1, v1, s31
	s_cmp_lg_u32 s12, 0
	s_cbranch_scc1 .LBB38_26
; %bb.25:
	v_dual_mov_b32 v3, 0 :: v_dual_mov_b32 v2, s28
	global_store_b64 v3, v[1:2], s[40:41]
.LBB38_26:
	v_mov_b32_e32 v2, s11
	ds_store_b32 v2, v1
.LBB38_27:
	s_or_b32 exec_lo, exec_lo, s0
	s_cmp_eq_u64 s[50:51], 0
	s_waitcnt lgkmcnt(0)
	s_waitcnt_vscnt null, 0x0
	s_cselect_b32 s0, -1, 0
	s_cmp_lg_u32 s12, 0
	s_barrier
	s_cselect_b32 s1, -1, 0
	buffer_gl0_inv
	s_or_b32 s0, s1, s0
	s_delay_alu instid0(SALU_CYCLE_1)
	s_and_b32 vcc_lo, exec_lo, s0
	s_cbranch_vccnz .LBB38_34
; %bb.28:
	s_mul_i32 s1, s26, s28
	s_mov_b32 s2, exec_lo
	v_cmpx_gt_i32_e64 s1, v0
	s_cbranch_execz .LBB38_33
; %bb.29:
	v_lshlrev_b32_e32 v3, 2, v0
	v_mov_b32_e32 v5, v0
	s_add_i32 s11, s11, 4
	s_mov_b32 s3, 0
	s_delay_alu instid0(VALU_DEP_2) | instskip(NEXT) | instid1(VALU_DEP_1)
	v_add_co_u32 v1, s0, s52, v3
	v_add_co_ci_u32_e64 v2, null, s53, 0, s0
	v_add_co_u32 v3, s0, s50, v3
	s_delay_alu instid0(VALU_DEP_1)
	v_add_co_ci_u32_e64 v4, null, s51, 0, s0
	s_set_inst_prefetch_distance 0x1
	s_branch .LBB38_31
	.p2align	6
.LBB38_30:                              ;   in Loop: Header=BB38_31 Depth=1
	s_or_b32 exec_lo, exec_lo, s0
	v_add_nc_u32_e32 v5, 0x100, v5
	v_add_co_u32 v1, vcc_lo, 0x400, v1
	v_add_co_ci_u32_e32 v2, vcc_lo, 0, v2, vcc_lo
	s_waitcnt lgkmcnt(0)
	global_store_b32 v[3:4], v9, off
	v_cmp_le_i32_e32 vcc_lo, s1, v5
	v_add_co_u32 v3, s0, 0x400, v3
	s_delay_alu instid0(VALU_DEP_1) | instskip(SKIP_1) | instid1(SALU_CYCLE_1)
	v_add_co_ci_u32_e64 v4, s0, 0, v4, s0
	s_or_b32 s3, vcc_lo, s3
	s_and_not1_b32 exec_lo, exec_lo, s3
	s_cbranch_execz .LBB38_33
.LBB38_31:                              ; =>This Inner Loop Header: Depth=1
	global_load_b32 v6, v[1:2], off
	v_mov_b32_e32 v9, -1
	s_waitcnt vmcnt(0)
	v_cmp_lt_i32_e32 vcc_lo, -1, v6
	v_cmp_gt_i32_e64 s0, s29, v6
	s_delay_alu instid0(VALU_DEP_1) | instskip(NEXT) | instid1(SALU_CYCLE_1)
	s_and_b32 s4, vcc_lo, s0
	s_and_saveexec_b32 s0, s4
	s_cbranch_execz .LBB38_30
; %bb.32:                               ;   in Loop: Header=BB38_31 Depth=1
	v_lshl_add_u32 v6, v6, 2, s11
	ds_load_b32 v9, v6
	s_branch .LBB38_30
.LBB38_33:
	s_set_inst_prefetch_distance 0x2
	s_or_b32 exec_lo, exec_lo, s2
.LBB38_34:
	s_lshl_b32 s0, s12, 2
	s_delay_alu instid0(SALU_CYCLE_1) | instskip(NEXT) | instid1(SALU_CYCLE_1)
	s_add_i32 s0, s0, 0
	v_mov_b32_e32 v1, s0
	ds_load_2addr_b32 v[5:6], v1 offset0:20 offset1:21
	s_waitcnt lgkmcnt(0)
	v_cmp_eq_u32_e32 vcc_lo, v5, v6
	s_cbranch_vccnz .LBB38_80
; %bb.35:
	s_ashr_i32 s13, s12, 31
	v_mov_b32_e32 v33, 0
	s_lshl_b64 s[0:1], s[12:13], 2
	s_delay_alu instid0(SALU_CYCLE_1)
	s_add_u32 s0, s14, s0
	s_addc_u32 s1, s15, s1
	global_load_b32 v1, v33, s[0:1]
	s_waitcnt vmcnt(0)
	v_cmp_eq_u32_e32 vcc_lo, 0, v1
	s_cbranch_vccnz .LBB38_80
; %bb.36:
	s_cmp_lt_i32 s30, 16
	s_cbranch_scc1 .LBB38_77
; %bb.37:
	v_mbcnt_lo_u32_b32 v1, -1, 0
	v_lshlrev_b32_e32 v29, 4, v0
	s_lshr_b32 s0, s30, 4
	v_lshl_add_u32 v28, v7, 2, 0
	s_addk_i32 s0, 0xff
	v_dual_mov_b32 v9, 0 :: v_dual_lshlrev_b32 v2, 2, v1
	v_cmp_lt_u32_e32 vcc_lo, 15, v1
	v_or_b32_e32 v1, 15, v29
	s_lshr_b32 s27, s0, 8
	s_delay_alu instid0(VALU_DEP_3) | instskip(SKIP_1) | instid1(VALU_DEP_3)
	v_dual_mov_b32 v33, 0 :: v_dual_and_b32 v2, 64, v2
	v_cmp_eq_u32_e64 s0, 31, v8
	v_mad_u64_u32 v[7:8], null, s26, v1, -1
	s_delay_alu instid0(VALU_DEP_3)
	v_dual_mov_b32 v32, v0 :: v_dual_add_nc_u32 v27, -4, v2
	v_or_b32_e32 v2, 14, v29
	v_or_b32_e32 v1, 13, v29
	;; [unrolled: 1-line block ×3, first 2 shown]
	s_add_i32 s1, s28, 15
	v_mul_lo_u32 v4, s26, v29
	v_mad_u64_u32 v[10:11], null, s26, v2, -1
	v_or_b32_e32 v2, 12, v29
	v_mad_u64_u32 v[11:12], null, s26, v1, -1
	v_or_b32_e32 v1, 11, v29
	s_ashr_i32 s3, s1, 31
	s_delay_alu instid0(VALU_DEP_3) | instskip(SKIP_1) | instid1(VALU_DEP_3)
	v_mad_u64_u32 v[12:13], null, s26, v2, -1
	v_or_b32_e32 v2, 10, v29
	v_mad_u64_u32 v[13:14], null, s26, v1, -1
	v_or_b32_e32 v1, 9, v29
	v_mul_lo_u32 v8, v0, s26
	s_delay_alu instid0(VALU_DEP_4) | instskip(SKIP_1) | instid1(VALU_DEP_4)
	v_mad_u64_u32 v[14:15], null, s26, v2, -1
	v_or_b32_e32 v2, 8, v29
	v_mad_u64_u32 v[15:16], null, s26, v1, -1
	v_or_b32_e32 v1, 7, v29
	s_lshr_b32 s3, s3, 28
	s_delay_alu instid0(VALU_DEP_3) | instskip(SKIP_1) | instid1(VALU_DEP_3)
	v_mad_u64_u32 v[16:17], null, s26, v2, -1
	v_or_b32_e32 v2, 6, v29
	v_mad_u64_u32 v[17:18], null, s26, v1, -1
	v_or_b32_e32 v1, 4, v29
	s_mul_i32 s2, s30, s12
	s_delay_alu instid0(VALU_DEP_3)
	v_mad_u64_u32 v[18:19], null, s26, v2, -1
	v_or_b32_e32 v2, 3, v29
	v_mad_u64_u32 v[19:20], null, s26, v3, -1
	v_or_b32_e32 v3, 2, v29
	v_mad_u64_u32 v[20:21], null, s26, v1, -1
	s_add_i32 s1, s1, s3
	v_mad_u64_u32 v[21:22], null, s26, v2, -1
	s_delay_alu instid0(VALU_DEP_3)
	v_mad_u64_u32 v[22:23], null, s26, v3, -1
	s_ashr_i32 s4, s2, 31
	s_ashr_i32 s29, s1, 4
	s_add_u32 s33, s36, s2
	s_addc_u32 s34, s37, s4
	v_cmp_gt_u32_e64 s1, 32, v0
	v_cmp_lt_u32_e64 s2, 63, v0
	v_cmp_lt_u32_e64 s3, 0x5f, v0
	;; [unrolled: 1-line block ×6, first 2 shown]
	v_cmp_eq_u32_e64 s8, 0xff, v0
	v_add3_u32 v30, v4, s26, -1
	v_lshl_add_u32 v31, v8, 4, -1
	s_mov_b32 s35, 0
	s_lshl_b32 s36, s26, 12
	s_mov_b64 s[30:31], 0
	s_branch .LBB38_39
.LBB38_38:                              ;   in Loop: Header=BB38_39 Depth=1
	s_or_b32 exec_lo, exec_lo, s10
	s_add_i32 s35, s35, s36
	s_add_u32 s30, s30, 0x1000
	s_addc_u32 s31, s31, 0
	s_add_i32 s27, s27, -1
	v_add_nc_u32_e32 v32, 0x100, v32
	s_add_u32 s33, s33, 0x1000
	s_addc_u32 s34, s34, 0
	s_cmp_eq_u32 s27, 0
	s_cbranch_scc1 .LBB38_77
.LBB38_39:                              ; =>This Inner Loop Header: Depth=1
	v_dual_mov_b32 v1, 0 :: v_dual_mov_b32 v2, 0
	v_dual_mov_b32 v3, 0 :: v_dual_mov_b32 v4, 0
	s_mov_b32 s10, exec_lo
	v_cmpx_gt_i32_e64 s29, v32
	s_cbranch_execz .LBB38_41
; %bb.40:                               ;   in Loop: Header=BB38_39 Depth=1
	v_add_co_u32 v1, s9, s33, v29
	s_delay_alu instid0(VALU_DEP_1)
	v_add_co_ci_u32_e64 v2, null, s34, 0, s9
	global_load_b128 v[1:4], v[1:2], off
.LBB38_41:                              ;   in Loop: Header=BB38_39 Depth=1
	s_or_b32 exec_lo, exec_lo, s10
	s_waitcnt vmcnt(0)
	v_lshrrev_b32_e32 v53, 8, v1
	v_lshrrev_b32_e32 v51, 16, v1
	v_lshrrev_b64 v[25:26], 24, v[1:2]
	v_and_b32_e32 v8, 0xff, v1
	v_lshrrev_b32_e32 v44, 16, v2
	v_and_b32_e32 v54, 0xff, v53
	v_and_b32_e32 v52, 0xff, v51
	v_lshrrev_b32_e32 v47, 8, v2
	v_and_b32_e32 v50, 0xff, v25
	v_cmp_ne_u16_e64 s24, 0, v8
	v_cmp_ne_u16_e64 s23, 0, v54
	;; [unrolled: 1-line block ×3, first 2 shown]
	v_and_b32_e32 v49, 0xff, v2
	v_and_b32_e32 v48, 0xff, v47
	v_cmp_ne_u16_e64 s21, 0, v50
	v_cndmask_b32_e64 v23, 0, 1, s23
	v_cndmask_b32_e64 v24, 0, 1, s22
	v_cmp_ne_u16_e64 s20, 0, v49
	v_and_b32_e32 v46, 0xff, v44
	v_cmp_ne_u16_e64 s19, 0, v48
	v_add_co_ci_u32_e64 v23, s9, 0, v23, s24
	v_lshrrev_b32_e32 v45, 24, v2
	s_delay_alu instid0(VALU_DEP_4) | instskip(SKIP_1) | instid1(VALU_DEP_4)
	v_cmp_ne_u16_e64 s18, 0, v46
	v_lshrrev_b32_e32 v41, 8, v3
	v_add_co_ci_u32_e64 v23, s9, v23, v24, s21
	v_cndmask_b32_e64 v24, 0, 1, s20
	v_cmp_ne_u16_e64 s17, 0, v45
	v_and_b32_e32 v43, 0xff, v3
	v_lshrrev_b32_e32 v39, 16, v3
	v_and_b32_e32 v42, 0xff, v41
	v_add_co_ci_u32_e64 v23, s9, v23, v24, s19
	v_cndmask_b32_e64 v24, 0, 1, s18
	v_cmp_ne_u16_e64 s16, 0, v43
	v_and_b32_e32 v40, 0xff, v39
	v_cmp_ne_u16_e64 s15, 0, v42
	v_lshrrev_b32_e32 v35, 8, v4
	v_add_co_ci_u32_e64 v26, s9, v23, v24, s17
	v_lshrrev_b64 v[23:24], 24, v[3:4]
	v_cndmask_b32_e64 v34, 0, 1, s16
	v_cmp_ne_u16_e64 s14, 0, v40
	v_and_b32_e32 v37, 0xff, v4
	v_lshrrev_b32_e32 v24, 16, v4
	v_and_b32_e32 v36, 0xff, v35
	v_and_b32_e32 v38, 0xff, v23
	v_add_co_ci_u32_e64 v26, s9, v26, v34, s15
	v_cndmask_b32_e64 v34, 0, 1, s14
	v_cmp_ne_u16_e64 s12, 0, v37
	s_delay_alu instid0(VALU_DEP_4)
	v_cmp_ne_u16_e64 s13, 0, v38
	v_cmp_ne_u16_e64 s11, 0, v36
	s_waitcnt_vscnt null, 0x0
	s_waitcnt lgkmcnt(0)
	s_barrier
	v_cndmask_b32_e64 v55, 0, 1, s12
	v_add_co_ci_u32_e64 v26, s9, v26, v34, s13
	v_and_b32_e32 v34, 0xff, v24
	buffer_gl0_inv
	v_add_co_ci_u32_e64 v55, s9, v26, v55, s11
	v_lshrrev_b32_e32 v26, 24, v4
	v_cmp_ne_u16_e64 s10, 0, v34
	s_delay_alu instid0(VALU_DEP_2) | instskip(NEXT) | instid1(VALU_DEP_2)
	v_cmp_ne_u16_e64 s9, 0, v26
	v_cndmask_b32_e64 v56, 0, 1, s10
	s_delay_alu instid0(VALU_DEP_1) | instskip(NEXT) | instid1(VALU_DEP_1)
	v_add_co_ci_u32_e64 v55, s25, v55, v56, s9
	v_add_nc_u32_dpp v56, v55, v55 row_shr:1 row_mask:0xf bank_mask:0xf bound_ctrl:1
	s_delay_alu instid0(VALU_DEP_1) | instskip(NEXT) | instid1(VALU_DEP_1)
	v_add_nc_u32_dpp v56, v56, v56 row_shr:2 row_mask:0xf bank_mask:0xf bound_ctrl:1
	v_add_nc_u32_dpp v56, v56, v56 row_shr:4 row_mask:0xf bank_mask:0xf bound_ctrl:1
	s_delay_alu instid0(VALU_DEP_1) | instskip(SKIP_3) | instid1(VALU_DEP_1)
	v_add_nc_u32_dpp v56, v56, v56 row_shr:8 row_mask:0xf bank_mask:0xf bound_ctrl:1
	ds_bpermute_b32 v57, v27, v56
	s_waitcnt lgkmcnt(0)
	v_cndmask_b32_e32 v57, 0, v57, vcc_lo
	v_add_nc_u32_e32 v56, v56, v57
	s_and_saveexec_b32 s25, s0
	s_cbranch_execz .LBB38_43
; %bb.42:                               ;   in Loop: Header=BB38_39 Depth=1
	ds_store_b32 v28, v56 offset:16
.LBB38_43:                              ;   in Loop: Header=BB38_39 Depth=1
	s_or_b32 exec_lo, exec_lo, s25
	s_waitcnt lgkmcnt(0)
	s_barrier
	buffer_gl0_inv
	ds_load_2addr_b32 v[57:58], v9 offset0:4 offset1:5
	ds_load_2addr_b32 v[59:60], v9 offset0:6 offset1:7
	;; [unrolled: 1-line block ×3, first 2 shown]
	ds_load_b32 v63, v9 offset:40
	s_waitcnt lgkmcnt(3)
	v_cndmask_b32_e64 v57, v57, 0, s1
	v_cndmask_b32_e64 v58, 0, v58, s2
	s_waitcnt lgkmcnt(2)
	v_cndmask_b32_e64 v59, 0, v59, s3
	s_delay_alu instid0(VALU_DEP_3) | instskip(SKIP_3) | instid1(VALU_DEP_3)
	v_add3_u32 v33, v56, v33, v57
	v_cndmask_b32_e64 v56, 0, v60, s4
	s_waitcnt lgkmcnt(1)
	v_cndmask_b32_e64 v57, 0, v61, s5
	v_add3_u32 v33, v33, v58, v59
	v_cndmask_b32_e64 v58, 0, v62, s6
	s_waitcnt lgkmcnt(0)
	v_cndmask_b32_e64 v59, 0, v63, s7
	s_delay_alu instid0(VALU_DEP_3) | instskip(NEXT) | instid1(VALU_DEP_1)
	v_add3_u32 v33, v33, v56, v57
	v_add3_u32 v56, v33, v58, v59
	s_and_saveexec_b32 s25, s8
	s_cbranch_execz .LBB38_45
; %bb.44:                               ;   in Loop: Header=BB38_39 Depth=1
	ds_store_b32 v9, v56
.LBB38_45:                              ;   in Loop: Header=BB38_39 Depth=1
	s_or_b32 exec_lo, exec_lo, s25
	s_waitcnt lgkmcnt(0)
	s_barrier
	buffer_gl0_inv
	ds_load_b32 v33, v9
	v_sub_nc_u32_e32 v56, v56, v55
	v_mov_b32_e32 v55, 0
	v_mov_b32_e32 v57, 0
	s_and_saveexec_b32 s25, s24
	s_cbranch_execz .LBB38_47
; %bb.46:                               ;   in Loop: Header=BB38_39 Depth=1
	v_add3_u32 v8, v31, s35, v8
	s_delay_alu instid0(VALU_DEP_1) | instskip(NEXT) | instid1(VALU_DEP_1)
	v_lshlrev_b64 v[57:58], 2, v[8:9]
	v_add_co_u32 v57, s24, s54, v57
	s_delay_alu instid0(VALU_DEP_1) | instskip(SKIP_3) | instid1(VALU_DEP_2)
	v_add_co_ci_u32_e64 v58, s24, s55, v58, s24
	global_load_b32 v8, v[57:58], off
	v_add_nc_u32_e32 v58, s30, v29
	v_add_nc_u32_e32 v57, v56, v5
	v_and_b32_e32 v59, 0xfffff0, v58
	s_delay_alu instid0(VALU_DEP_2) | instskip(NEXT) | instid1(VALU_DEP_2)
	v_ashrrev_i32_e32 v58, 31, v57
	v_lshl_or_b32 v1, v1, 24, v59
	s_delay_alu instid0(VALU_DEP_2) | instskip(NEXT) | instid1(VALU_DEP_2)
	v_lshlrev_b64 v[57:58], 2, v[57:58]
	v_add_nc_u32_e32 v1, 0xff000000, v1
	s_delay_alu instid0(VALU_DEP_2) | instskip(NEXT) | instid1(VALU_DEP_1)
	v_add_co_u32 v59, s24, s44, v57
	v_add_co_ci_u32_e64 v60, s24, s45, v58, s24
	v_add_co_u32 v61, s24, s46, v57
	v_mov_b32_e32 v57, 1
	v_add_co_ci_u32_e64 v62, s24, s47, v58, s24
	global_store_b32 v[59:60], v1, off
	s_waitcnt vmcnt(0)
	global_store_b32 v[61:62], v8, off
.LBB38_47:                              ;   in Loop: Header=BB38_39 Depth=1
	s_or_b32 exec_lo, exec_lo, s25
	s_delay_alu instid0(VALU_DEP_1)
	v_add_nc_u32_e32 v1, v57, v56
	s_and_saveexec_b32 s24, s23
	s_cbranch_execz .LBB38_49
; %bb.48:                               ;   in Loop: Header=BB38_39 Depth=1
	v_add3_u32 v8, v30, s35, v54
	s_delay_alu instid0(VALU_DEP_1) | instskip(NEXT) | instid1(VALU_DEP_1)
	v_lshlrev_b64 v[54:55], 2, v[8:9]
	v_add_co_u32 v54, s23, s54, v54
	s_delay_alu instid0(VALU_DEP_1) | instskip(SKIP_3) | instid1(VALU_DEP_2)
	v_add_co_ci_u32_e64 v55, s23, s55, v55, s23
	global_load_b32 v8, v[54:55], off
	v_add3_u32 v55, v29, s30, 1
	v_add_nc_u32_e32 v54, v1, v5
	v_and_b32_e32 v56, 0xfffff1, v55
	s_delay_alu instid0(VALU_DEP_2) | instskip(NEXT) | instid1(VALU_DEP_2)
	v_ashrrev_i32_e32 v55, 31, v54
	v_lshl_or_b32 v56, v53, 24, v56
	s_delay_alu instid0(VALU_DEP_2) | instskip(NEXT) | instid1(VALU_DEP_2)
	v_lshlrev_b64 v[53:54], 2, v[54:55]
	v_dual_mov_b32 v55, 1 :: v_dual_add_nc_u32 v58, 0xff000000, v56
	s_delay_alu instid0(VALU_DEP_2) | instskip(NEXT) | instid1(VALU_DEP_1)
	v_add_co_u32 v56, s23, s44, v53
	v_add_co_ci_u32_e64 v57, s23, s45, v54, s23
	v_add_co_u32 v53, s23, s46, v53
	s_delay_alu instid0(VALU_DEP_1)
	v_add_co_ci_u32_e64 v54, s23, s47, v54, s23
	global_store_b32 v[56:57], v58, off
	s_waitcnt vmcnt(0)
	global_store_b32 v[53:54], v8, off
.LBB38_49:                              ;   in Loop: Header=BB38_39 Depth=1
	s_or_b32 exec_lo, exec_lo, s24
	s_delay_alu instid0(VALU_DEP_1)
	v_dual_mov_b32 v8, 0 :: v_dual_add_nc_u32 v53, v55, v1
	v_mov_b32_e32 v1, 0
	s_and_saveexec_b32 s23, s22
	s_cbranch_execz .LBB38_51
; %bb.50:                               ;   in Loop: Header=BB38_39 Depth=1
	v_add3_u32 v8, v22, s35, v52
	s_delay_alu instid0(VALU_DEP_1) | instskip(SKIP_1) | instid1(VALU_DEP_1)
	v_lshlrev_b64 v[54:55], 2, v[8:9]
	v_add3_u32 v8, v29, s30, 2
	v_and_b32_e32 v8, 0xfffff2, v8
	s_delay_alu instid0(VALU_DEP_3) | instskip(NEXT) | instid1(VALU_DEP_1)
	v_add_co_u32 v54, s22, s54, v54
	v_add_co_ci_u32_e64 v55, s22, s55, v55, s22
	s_delay_alu instid0(VALU_DEP_3) | instskip(SKIP_3) | instid1(VALU_DEP_2)
	v_lshl_or_b32 v8, v51, 24, v8
	global_load_b32 v56, v[54:55], off
	v_add_nc_u32_e32 v54, v53, v5
	v_dual_mov_b32 v8, 1 :: v_dual_add_nc_u32 v57, 0xff000000, v8
	v_ashrrev_i32_e32 v55, 31, v54
	s_delay_alu instid0(VALU_DEP_1) | instskip(NEXT) | instid1(VALU_DEP_1)
	v_lshlrev_b64 v[51:52], 2, v[54:55]
	v_add_co_u32 v54, s22, s44, v51
	s_delay_alu instid0(VALU_DEP_1) | instskip(SKIP_1) | instid1(VALU_DEP_1)
	v_add_co_ci_u32_e64 v55, s22, s45, v52, s22
	v_add_co_u32 v51, s22, s46, v51
	v_add_co_ci_u32_e64 v52, s22, s47, v52, s22
	global_store_b32 v[54:55], v57, off
	s_waitcnt vmcnt(0)
	global_store_b32 v[51:52], v56, off
.LBB38_51:                              ;   in Loop: Header=BB38_39 Depth=1
	s_or_b32 exec_lo, exec_lo, s23
	v_add_nc_u32_e32 v51, v8, v53
	s_and_saveexec_b32 s22, s21
	s_cbranch_execz .LBB38_53
; %bb.52:                               ;   in Loop: Header=BB38_39 Depth=1
	v_add3_u32 v8, v21, s35, v50
	v_add3_u32 v1, v29, s30, 3
	s_delay_alu instid0(VALU_DEP_2) | instskip(NEXT) | instid1(VALU_DEP_2)
	v_lshlrev_b64 v[52:53], 2, v[8:9]
	v_and_b32_e32 v1, 0xfffff3, v1
	s_delay_alu instid0(VALU_DEP_1) | instskip(NEXT) | instid1(VALU_DEP_3)
	v_lshl_or_b32 v1, v25, 24, v1
	v_add_co_u32 v52, s21, s54, v52
	s_delay_alu instid0(VALU_DEP_1) | instskip(NEXT) | instid1(VALU_DEP_3)
	v_add_co_ci_u32_e64 v53, s21, s55, v53, s21
	v_add_nc_u32_e32 v25, 0xff000000, v1
	v_mov_b32_e32 v1, 1
	global_load_b32 v8, v[52:53], off
	v_add_nc_u32_e32 v52, v51, v5
	s_delay_alu instid0(VALU_DEP_1) | instskip(NEXT) | instid1(VALU_DEP_1)
	v_ashrrev_i32_e32 v53, 31, v52
	v_lshlrev_b64 v[52:53], 2, v[52:53]
	s_delay_alu instid0(VALU_DEP_1) | instskip(NEXT) | instid1(VALU_DEP_1)
	v_add_co_u32 v54, s21, s44, v52
	v_add_co_ci_u32_e64 v55, s21, s45, v53, s21
	v_add_co_u32 v52, s21, s46, v52
	s_delay_alu instid0(VALU_DEP_1)
	v_add_co_ci_u32_e64 v53, s21, s47, v53, s21
	global_store_b32 v[54:55], v25, off
	s_waitcnt vmcnt(0)
	global_store_b32 v[52:53], v8, off
.LBB38_53:                              ;   in Loop: Header=BB38_39 Depth=1
	s_or_b32 exec_lo, exec_lo, s22
	s_delay_alu instid0(VALU_DEP_1)
	v_dual_mov_b32 v8, 0 :: v_dual_add_nc_u32 v25, v1, v51
	v_mov_b32_e32 v1, 0
	s_and_saveexec_b32 s21, s20
	s_cbranch_execz .LBB38_55
; %bb.54:                               ;   in Loop: Header=BB38_39 Depth=1
	v_add3_u32 v8, v20, s35, v49
	s_delay_alu instid0(VALU_DEP_1) | instskip(SKIP_1) | instid1(VALU_DEP_1)
	v_lshlrev_b64 v[49:50], 2, v[8:9]
	v_add3_u32 v8, v29, s30, 4
	v_and_b32_e32 v8, 0xfffff4, v8
	s_delay_alu instid0(VALU_DEP_3) | instskip(NEXT) | instid1(VALU_DEP_1)
	v_add_co_u32 v49, s20, s54, v49
	v_add_co_ci_u32_e64 v50, s20, s55, v50, s20
	s_delay_alu instid0(VALU_DEP_3) | instskip(SKIP_4) | instid1(VALU_DEP_2)
	v_lshl_or_b32 v2, v2, 24, v8
	v_mov_b32_e32 v8, 1
	global_load_b32 v53, v[49:50], off
	v_add_nc_u32_e32 v49, v25, v5
	v_add_nc_u32_e32 v2, 0xff000000, v2
	v_ashrrev_i32_e32 v50, 31, v49
	s_delay_alu instid0(VALU_DEP_1) | instskip(NEXT) | instid1(VALU_DEP_1)
	v_lshlrev_b64 v[49:50], 2, v[49:50]
	v_add_co_u32 v51, s20, s44, v49
	s_delay_alu instid0(VALU_DEP_1) | instskip(SKIP_1) | instid1(VALU_DEP_1)
	v_add_co_ci_u32_e64 v52, s20, s45, v50, s20
	v_add_co_u32 v49, s20, s46, v49
	v_add_co_ci_u32_e64 v50, s20, s47, v50, s20
	global_store_b32 v[51:52], v2, off
	s_waitcnt vmcnt(0)
	global_store_b32 v[49:50], v53, off
.LBB38_55:                              ;   in Loop: Header=BB38_39 Depth=1
	s_or_b32 exec_lo, exec_lo, s21
	v_add_nc_u32_e32 v2, v8, v25
	s_and_saveexec_b32 s20, s19
	s_cbranch_execz .LBB38_57
; %bb.56:                               ;   in Loop: Header=BB38_39 Depth=1
	v_add3_u32 v8, v19, s35, v48
	v_add3_u32 v1, v29, s30, 5
	s_delay_alu instid0(VALU_DEP_2) | instskip(NEXT) | instid1(VALU_DEP_2)
	v_lshlrev_b64 v[48:49], 2, v[8:9]
	v_and_b32_e32 v1, 0xfffff5, v1
	s_delay_alu instid0(VALU_DEP_1) | instskip(NEXT) | instid1(VALU_DEP_3)
	v_lshl_or_b32 v1, v47, 24, v1
	v_add_co_u32 v48, s19, s54, v48
	s_delay_alu instid0(VALU_DEP_1) | instskip(NEXT) | instid1(VALU_DEP_3)
	v_add_co_ci_u32_e64 v49, s19, s55, v49, s19
	v_add_nc_u32_e32 v25, 0xff000000, v1
	v_mov_b32_e32 v1, 1
	global_load_b32 v8, v[48:49], off
	v_add_nc_u32_e32 v48, v2, v5
	s_delay_alu instid0(VALU_DEP_1) | instskip(NEXT) | instid1(VALU_DEP_1)
	v_ashrrev_i32_e32 v49, 31, v48
	v_lshlrev_b64 v[47:48], 2, v[48:49]
	s_delay_alu instid0(VALU_DEP_1) | instskip(NEXT) | instid1(VALU_DEP_1)
	v_add_co_u32 v49, s19, s44, v47
	v_add_co_ci_u32_e64 v50, s19, s45, v48, s19
	v_add_co_u32 v47, s19, s46, v47
	s_delay_alu instid0(VALU_DEP_1)
	v_add_co_ci_u32_e64 v48, s19, s47, v48, s19
	global_store_b32 v[49:50], v25, off
	s_waitcnt vmcnt(0)
	global_store_b32 v[47:48], v8, off
.LBB38_57:                              ;   in Loop: Header=BB38_39 Depth=1
	s_or_b32 exec_lo, exec_lo, s20
	s_delay_alu instid0(VALU_DEP_1)
	v_dual_mov_b32 v1, 0 :: v_dual_add_nc_u32 v2, v1, v2
	v_mov_b32_e32 v8, 0
	s_and_saveexec_b32 s19, s18
	s_cbranch_execz .LBB38_59
; %bb.58:                               ;   in Loop: Header=BB38_39 Depth=1
	v_add3_u32 v8, v18, s35, v46
	s_delay_alu instid0(VALU_DEP_1) | instskip(SKIP_1) | instid1(VALU_DEP_1)
	v_lshlrev_b64 v[46:47], 2, v[8:9]
	v_add3_u32 v8, v29, s30, 6
	v_and_b32_e32 v8, 0xfffff6, v8
	s_delay_alu instid0(VALU_DEP_3) | instskip(NEXT) | instid1(VALU_DEP_1)
	v_add_co_u32 v46, s18, s54, v46
	v_add_co_ci_u32_e64 v47, s18, s55, v47, s18
	s_delay_alu instid0(VALU_DEP_3) | instskip(SKIP_4) | instid1(VALU_DEP_3)
	v_lshl_or_b32 v8, v44, 24, v8
	global_load_b32 v25, v[46:47], off
	v_add_nc_u32_e32 v46, v2, v5
	v_add_nc_u32_e32 v44, 0xff000000, v8
	v_mov_b32_e32 v8, 1
	v_ashrrev_i32_e32 v47, 31, v46
	s_delay_alu instid0(VALU_DEP_1) | instskip(NEXT) | instid1(VALU_DEP_1)
	v_lshlrev_b64 v[46:47], 2, v[46:47]
	v_add_co_u32 v48, s18, s44, v46
	s_delay_alu instid0(VALU_DEP_1) | instskip(SKIP_1) | instid1(VALU_DEP_1)
	v_add_co_ci_u32_e64 v49, s18, s45, v47, s18
	v_add_co_u32 v46, s18, s46, v46
	v_add_co_ci_u32_e64 v47, s18, s47, v47, s18
	global_store_b32 v[48:49], v44, off
	s_waitcnt vmcnt(0)
	global_store_b32 v[46:47], v25, off
.LBB38_59:                              ;   in Loop: Header=BB38_39 Depth=1
	s_or_b32 exec_lo, exec_lo, s19
	s_delay_alu instid0(VALU_DEP_1)
	v_add_nc_u32_e32 v2, v8, v2
	s_and_saveexec_b32 s18, s17
	s_cbranch_execz .LBB38_61
; %bb.60:                               ;   in Loop: Header=BB38_39 Depth=1
	v_and_b32_e32 v1, 0xffff, v45
	v_add3_u32 v25, v29, s30, 7
	s_delay_alu instid0(VALU_DEP_2) | instskip(NEXT) | instid1(VALU_DEP_2)
	v_add3_u32 v8, v17, s35, v1
	v_and_b32_e32 v25, 0xfffff7, v25
	s_delay_alu instid0(VALU_DEP_2) | instskip(NEXT) | instid1(VALU_DEP_2)
	v_lshlrev_b64 v[44:45], 2, v[8:9]
	v_lshl_or_b32 v1, v1, 24, v25
	s_delay_alu instid0(VALU_DEP_1) | instskip(NEXT) | instid1(VALU_DEP_3)
	v_add_nc_u32_e32 v25, 0xff000000, v1
	v_add_co_u32 v44, s17, s54, v44
	s_delay_alu instid0(VALU_DEP_1) | instskip(SKIP_3) | instid1(VALU_DEP_1)
	v_add_co_ci_u32_e64 v45, s17, s55, v45, s17
	v_mov_b32_e32 v1, 1
	global_load_b32 v8, v[44:45], off
	v_add_nc_u32_e32 v44, v2, v5
	v_ashrrev_i32_e32 v45, 31, v44
	s_delay_alu instid0(VALU_DEP_1) | instskip(NEXT) | instid1(VALU_DEP_1)
	v_lshlrev_b64 v[44:45], 2, v[44:45]
	v_add_co_u32 v46, s17, s44, v44
	s_delay_alu instid0(VALU_DEP_1) | instskip(SKIP_1) | instid1(VALU_DEP_1)
	v_add_co_ci_u32_e64 v47, s17, s45, v45, s17
	v_add_co_u32 v44, s17, s46, v44
	v_add_co_ci_u32_e64 v45, s17, s47, v45, s17
	global_store_b32 v[46:47], v25, off
	s_waitcnt vmcnt(0)
	global_store_b32 v[44:45], v8, off
.LBB38_61:                              ;   in Loop: Header=BB38_39 Depth=1
	s_or_b32 exec_lo, exec_lo, s18
	s_delay_alu instid0(VALU_DEP_1)
	v_dual_mov_b32 v1, 0 :: v_dual_add_nc_u32 v2, v1, v2
	v_mov_b32_e32 v8, 0
	s_and_saveexec_b32 s17, s16
	s_cbranch_execz .LBB38_63
; %bb.62:                               ;   in Loop: Header=BB38_39 Depth=1
	v_add3_u32 v8, v16, s35, v43
	s_delay_alu instid0(VALU_DEP_1) | instskip(SKIP_1) | instid1(VALU_DEP_1)
	v_lshlrev_b64 v[43:44], 2, v[8:9]
	v_add3_u32 v8, v29, s30, 8
	v_and_b32_e32 v8, 0xfffff8, v8
	s_delay_alu instid0(VALU_DEP_3) | instskip(NEXT) | instid1(VALU_DEP_1)
	v_add_co_u32 v43, s16, s54, v43
	v_add_co_ci_u32_e64 v44, s16, s55, v44, s16
	s_delay_alu instid0(VALU_DEP_3) | instskip(SKIP_4) | instid1(VALU_DEP_2)
	v_lshl_or_b32 v3, v3, 24, v8
	v_mov_b32_e32 v8, 1
	global_load_b32 v25, v[43:44], off
	v_add_nc_u32_e32 v43, v2, v5
	v_add_nc_u32_e32 v3, 0xff000000, v3
	v_ashrrev_i32_e32 v44, 31, v43
	s_delay_alu instid0(VALU_DEP_1) | instskip(NEXT) | instid1(VALU_DEP_1)
	v_lshlrev_b64 v[43:44], 2, v[43:44]
	v_add_co_u32 v45, s16, s44, v43
	s_delay_alu instid0(VALU_DEP_1) | instskip(SKIP_1) | instid1(VALU_DEP_1)
	v_add_co_ci_u32_e64 v46, s16, s45, v44, s16
	v_add_co_u32 v43, s16, s46, v43
	v_add_co_ci_u32_e64 v44, s16, s47, v44, s16
	global_store_b32 v[45:46], v3, off
	s_waitcnt vmcnt(0)
	global_store_b32 v[43:44], v25, off
.LBB38_63:                              ;   in Loop: Header=BB38_39 Depth=1
	s_or_b32 exec_lo, exec_lo, s17
	s_delay_alu instid0(VALU_DEP_1)
	v_add_nc_u32_e32 v2, v8, v2
	s_and_saveexec_b32 s16, s15
	s_cbranch_execz .LBB38_65
; %bb.64:                               ;   in Loop: Header=BB38_39 Depth=1
	v_add3_u32 v8, v15, s35, v42
	v_add3_u32 v1, v29, s30, 9
	s_delay_alu instid0(VALU_DEP_2) | instskip(NEXT) | instid1(VALU_DEP_2)
	v_lshlrev_b64 v[42:43], 2, v[8:9]
	v_and_b32_e32 v1, 0xfffff9, v1
	s_delay_alu instid0(VALU_DEP_1) | instskip(NEXT) | instid1(VALU_DEP_3)
	v_lshl_or_b32 v1, v41, 24, v1
	v_add_co_u32 v42, s15, s54, v42
	s_delay_alu instid0(VALU_DEP_1) | instskip(NEXT) | instid1(VALU_DEP_3)
	v_add_co_ci_u32_e64 v43, s15, s55, v43, s15
	v_dual_mov_b32 v1, 1 :: v_dual_add_nc_u32 v8, 0xff000000, v1
	global_load_b32 v3, v[42:43], off
	v_add_nc_u32_e32 v42, v2, v5
	s_delay_alu instid0(VALU_DEP_1) | instskip(NEXT) | instid1(VALU_DEP_1)
	v_ashrrev_i32_e32 v43, 31, v42
	v_lshlrev_b64 v[41:42], 2, v[42:43]
	s_delay_alu instid0(VALU_DEP_1) | instskip(NEXT) | instid1(VALU_DEP_1)
	v_add_co_u32 v43, s15, s44, v41
	v_add_co_ci_u32_e64 v44, s15, s45, v42, s15
	v_add_co_u32 v41, s15, s46, v41
	s_delay_alu instid0(VALU_DEP_1)
	v_add_co_ci_u32_e64 v42, s15, s47, v42, s15
	global_store_b32 v[43:44], v8, off
	s_waitcnt vmcnt(0)
	global_store_b32 v[41:42], v3, off
.LBB38_65:                              ;   in Loop: Header=BB38_39 Depth=1
	s_or_b32 exec_lo, exec_lo, s16
	s_delay_alu instid0(VALU_DEP_1)
	v_dual_mov_b32 v1, 0 :: v_dual_add_nc_u32 v2, v1, v2
	v_mov_b32_e32 v3, 0
	s_and_saveexec_b32 s15, s14
	s_cbranch_execz .LBB38_67
; %bb.66:                               ;   in Loop: Header=BB38_39 Depth=1
	v_add3_u32 v8, v14, s35, v40
	v_add3_u32 v3, v29, s30, 10
	s_delay_alu instid0(VALU_DEP_2) | instskip(NEXT) | instid1(VALU_DEP_2)
	v_lshlrev_b64 v[40:41], 2, v[8:9]
	v_and_b32_e32 v3, 0xfffffa, v3
	s_delay_alu instid0(VALU_DEP_1) | instskip(NEXT) | instid1(VALU_DEP_3)
	v_lshl_or_b32 v3, v39, 24, v3
	v_add_co_u32 v40, s14, s54, v40
	s_delay_alu instid0(VALU_DEP_1) | instskip(NEXT) | instid1(VALU_DEP_3)
	v_add_co_ci_u32_e64 v41, s14, s55, v41, s14
	v_add_nc_u32_e32 v25, 0xff000000, v3
	v_mov_b32_e32 v3, 1
	global_load_b32 v8, v[40:41], off
	v_add_nc_u32_e32 v40, v2, v5
	s_delay_alu instid0(VALU_DEP_1) | instskip(NEXT) | instid1(VALU_DEP_1)
	v_ashrrev_i32_e32 v41, 31, v40
	v_lshlrev_b64 v[39:40], 2, v[40:41]
	s_delay_alu instid0(VALU_DEP_1) | instskip(NEXT) | instid1(VALU_DEP_1)
	v_add_co_u32 v41, s14, s44, v39
	v_add_co_ci_u32_e64 v42, s14, s45, v40, s14
	v_add_co_u32 v39, s14, s46, v39
	s_delay_alu instid0(VALU_DEP_1)
	v_add_co_ci_u32_e64 v40, s14, s47, v40, s14
	global_store_b32 v[41:42], v25, off
	s_waitcnt vmcnt(0)
	global_store_b32 v[39:40], v8, off
.LBB38_67:                              ;   in Loop: Header=BB38_39 Depth=1
	s_or_b32 exec_lo, exec_lo, s15
	s_delay_alu instid0(VALU_DEP_1)
	v_add_nc_u32_e32 v2, v3, v2
	s_and_saveexec_b32 s14, s13
	s_cbranch_execz .LBB38_69
; %bb.68:                               ;   in Loop: Header=BB38_39 Depth=1
	v_add3_u32 v8, v13, s35, v38
	v_add3_u32 v1, v29, s30, 11
	s_delay_alu instid0(VALU_DEP_2) | instskip(NEXT) | instid1(VALU_DEP_2)
	v_lshlrev_b64 v[38:39], 2, v[8:9]
	v_and_b32_e32 v1, 0xfffffb, v1
	s_delay_alu instid0(VALU_DEP_1) | instskip(NEXT) | instid1(VALU_DEP_3)
	v_lshl_or_b32 v1, v23, 24, v1
	v_add_co_u32 v38, s13, s54, v38
	s_delay_alu instid0(VALU_DEP_1) | instskip(NEXT) | instid1(VALU_DEP_3)
	v_add_co_ci_u32_e64 v39, s13, s55, v39, s13
	v_dual_mov_b32 v1, 1 :: v_dual_add_nc_u32 v8, 0xff000000, v1
	global_load_b32 v3, v[38:39], off
	v_add_nc_u32_e32 v38, v2, v5
	s_delay_alu instid0(VALU_DEP_1) | instskip(NEXT) | instid1(VALU_DEP_1)
	v_ashrrev_i32_e32 v39, 31, v38
	v_lshlrev_b64 v[38:39], 2, v[38:39]
	s_delay_alu instid0(VALU_DEP_1) | instskip(NEXT) | instid1(VALU_DEP_1)
	v_add_co_u32 v40, s13, s44, v38
	v_add_co_ci_u32_e64 v41, s13, s45, v39, s13
	v_add_co_u32 v38, s13, s46, v38
	s_delay_alu instid0(VALU_DEP_1)
	v_add_co_ci_u32_e64 v39, s13, s47, v39, s13
	global_store_b32 v[40:41], v8, off
	s_waitcnt vmcnt(0)
	global_store_b32 v[38:39], v3, off
.LBB38_69:                              ;   in Loop: Header=BB38_39 Depth=1
	s_or_b32 exec_lo, exec_lo, s14
	s_delay_alu instid0(VALU_DEP_1)
	v_dual_mov_b32 v1, 0 :: v_dual_add_nc_u32 v2, v1, v2
	v_mov_b32_e32 v3, 0
	s_and_saveexec_b32 s13, s12
	s_cbranch_execz .LBB38_71
; %bb.70:                               ;   in Loop: Header=BB38_39 Depth=1
	v_add3_u32 v8, v12, s35, v37
	v_add3_u32 v3, v29, s30, 12
	s_delay_alu instid0(VALU_DEP_2) | instskip(NEXT) | instid1(VALU_DEP_2)
	v_lshlrev_b64 v[37:38], 2, v[8:9]
	v_and_b32_e32 v3, 0xfffffc, v3
	s_delay_alu instid0(VALU_DEP_1) | instskip(NEXT) | instid1(VALU_DEP_3)
	v_lshl_or_b32 v23, v4, 24, v3
	v_add_co_u32 v37, s12, s54, v37
	s_delay_alu instid0(VALU_DEP_1) | instskip(NEXT) | instid1(VALU_DEP_3)
	v_add_co_ci_u32_e64 v38, s12, s55, v38, s12
	v_add_nc_u32_e32 v23, 0xff000000, v23
	global_load_b32 v8, v[37:38], off
	v_add_nc_u32_e32 v37, v2, v5
	s_delay_alu instid0(VALU_DEP_1) | instskip(NEXT) | instid1(VALU_DEP_1)
	v_ashrrev_i32_e32 v38, 31, v37
	v_lshlrev_b64 v[3:4], 2, v[37:38]
	s_delay_alu instid0(VALU_DEP_1) | instskip(NEXT) | instid1(VALU_DEP_1)
	v_add_co_u32 v37, s12, s44, v3
	v_add_co_ci_u32_e64 v38, s12, s45, v4, s12
	v_add_co_u32 v39, s12, s46, v3
	v_mov_b32_e32 v3, 1
	v_add_co_ci_u32_e64 v40, s12, s47, v4, s12
	global_store_b32 v[37:38], v23, off
	s_waitcnt vmcnt(0)
	global_store_b32 v[39:40], v8, off
.LBB38_71:                              ;   in Loop: Header=BB38_39 Depth=1
	s_or_b32 exec_lo, exec_lo, s13
	s_delay_alu instid0(VALU_DEP_1)
	v_add_nc_u32_e32 v2, v3, v2
	s_and_saveexec_b32 s12, s11
	s_cbranch_execz .LBB38_73
; %bb.72:                               ;   in Loop: Header=BB38_39 Depth=1
	v_add3_u32 v8, v11, s35, v36
	v_add3_u32 v1, v29, s30, 13
	s_delay_alu instid0(VALU_DEP_2) | instskip(NEXT) | instid1(VALU_DEP_2)
	v_lshlrev_b64 v[3:4], 2, v[8:9]
	v_and_b32_e32 v1, 0xfffffd, v1
	s_delay_alu instid0(VALU_DEP_1) | instskip(NEXT) | instid1(VALU_DEP_3)
	v_lshl_or_b32 v1, v35, 24, v1
	v_add_co_u32 v3, s11, s54, v3
	s_delay_alu instid0(VALU_DEP_1) | instskip(NEXT) | instid1(VALU_DEP_3)
	v_add_co_ci_u32_e64 v4, s11, s55, v4, s11
	v_add_nc_u32_e32 v23, 0xff000000, v1
	v_mov_b32_e32 v1, 1
	global_load_b32 v8, v[3:4], off
	v_add_nc_u32_e32 v3, v2, v5
	s_delay_alu instid0(VALU_DEP_1) | instskip(NEXT) | instid1(VALU_DEP_1)
	v_ashrrev_i32_e32 v4, 31, v3
	v_lshlrev_b64 v[3:4], 2, v[3:4]
	s_delay_alu instid0(VALU_DEP_1) | instskip(NEXT) | instid1(VALU_DEP_1)
	v_add_co_u32 v35, s11, s44, v3
	v_add_co_ci_u32_e64 v36, s11, s45, v4, s11
	v_add_co_u32 v3, s11, s46, v3
	s_delay_alu instid0(VALU_DEP_1)
	v_add_co_ci_u32_e64 v4, s11, s47, v4, s11
	global_store_b32 v[35:36], v23, off
	s_waitcnt vmcnt(0)
	global_store_b32 v[3:4], v8, off
.LBB38_73:                              ;   in Loop: Header=BB38_39 Depth=1
	s_or_b32 exec_lo, exec_lo, s12
	s_delay_alu instid0(VALU_DEP_1)
	v_dual_mov_b32 v2, 0 :: v_dual_add_nc_u32 v1, v1, v2
	s_and_saveexec_b32 s11, s10
	s_cbranch_execz .LBB38_75
; %bb.74:                               ;   in Loop: Header=BB38_39 Depth=1
	v_add3_u32 v8, v10, s35, v34
	s_delay_alu instid0(VALU_DEP_1) | instskip(NEXT) | instid1(VALU_DEP_1)
	v_lshlrev_b64 v[2:3], 2, v[8:9]
	v_add_co_u32 v2, s10, s54, v2
	s_delay_alu instid0(VALU_DEP_1) | instskip(SKIP_3) | instid1(VALU_DEP_2)
	v_add_co_ci_u32_e64 v3, s10, s55, v3, s10
	global_load_b32 v4, v[2:3], off
	v_add3_u32 v3, v29, s30, 14
	v_add_nc_u32_e32 v2, v1, v5
	v_and_b32_e32 v8, 0xfffffe, v3
	s_delay_alu instid0(VALU_DEP_2) | instskip(NEXT) | instid1(VALU_DEP_2)
	v_ashrrev_i32_e32 v3, 31, v2
	v_lshl_or_b32 v8, v24, 24, v8
	s_delay_alu instid0(VALU_DEP_2) | instskip(NEXT) | instid1(VALU_DEP_2)
	v_lshlrev_b64 v[2:3], 2, v[2:3]
	v_add_nc_u32_e32 v8, 0xff000000, v8
	s_delay_alu instid0(VALU_DEP_2) | instskip(NEXT) | instid1(VALU_DEP_1)
	v_add_co_u32 v23, s10, s44, v2
	v_add_co_ci_u32_e64 v24, s10, s45, v3, s10
	v_add_co_u32 v34, s10, s46, v2
	v_mov_b32_e32 v2, 1
	v_add_co_ci_u32_e64 v35, s10, s47, v3, s10
	global_store_b32 v[23:24], v8, off
	s_waitcnt vmcnt(0)
	global_store_b32 v[34:35], v4, off
.LBB38_75:                              ;   in Loop: Header=BB38_39 Depth=1
	s_or_b32 exec_lo, exec_lo, s11
	s_and_saveexec_b32 s10, s9
	s_cbranch_execz .LBB38_38
; %bb.76:                               ;   in Loop: Header=BB38_39 Depth=1
	v_and_b32_e32 v23, 0xffff, v26
	v_add3_u32 v1, v1, v5, v2
	s_delay_alu instid0(VALU_DEP_2) | instskip(NEXT) | instid1(VALU_DEP_2)
	v_add3_u32 v8, v7, s35, v23
	v_ashrrev_i32_e32 v2, 31, v1
	s_delay_alu instid0(VALU_DEP_2) | instskip(NEXT) | instid1(VALU_DEP_2)
	v_lshlrev_b64 v[3:4], 2, v[8:9]
	v_lshlrev_b64 v[1:2], 2, v[1:2]
	s_delay_alu instid0(VALU_DEP_2) | instskip(NEXT) | instid1(VALU_DEP_1)
	v_add_co_u32 v3, s9, s54, v3
	v_add_co_ci_u32_e64 v4, s9, s55, v4, s9
	global_load_b32 v8, v[3:4], off
	v_add_nc_u32_e32 v3, -1, v23
	v_add3_u32 v4, v29, s30, 15
	s_delay_alu instid0(VALU_DEP_1) | instskip(SKIP_1) | instid1(VALU_DEP_1)
	v_perm_b32 v23, v3, v4, 0x4020100
	v_add_co_u32 v3, s9, s44, v1
	v_add_co_ci_u32_e64 v4, s9, s45, v2, s9
	v_add_co_u32 v1, s9, s46, v1
	s_delay_alu instid0(VALU_DEP_1)
	v_add_co_ci_u32_e64 v2, s9, s47, v2, s9
	global_store_b32 v[3:4], v23, off
	s_waitcnt vmcnt(0)
	global_store_b32 v[1:2], v8, off
	s_branch .LBB38_38
.LBB38_77:
	s_waitcnt lgkmcnt(0)
	v_add3_u32 v0, v33, v5, v0
	s_mov_b32 s0, exec_lo
	s_delay_alu instid0(VALU_DEP_1)
	v_cmpx_lt_i32_e64 v0, v6
	s_cbranch_execz .LBB38_80
; %bb.78:
	v_ashrrev_i32_e32 v1, 31, v0
	s_and_b32 s0, s28, 0xffffff
	s_lshl_b32 s1, s26, 24
	v_mov_b32_e32 v7, 0
	s_or_b32 s0, s1, s0
	v_lshlrev_b64 v[3:4], 2, v[0:1]
	v_mov_b32_e32 v5, s0
	s_mov_b32 s1, 0
	s_delay_alu instid0(VALU_DEP_2) | instskip(NEXT) | instid1(VALU_DEP_3)
	v_add_co_u32 v1, vcc_lo, s44, v3
	v_add_co_ci_u32_e32 v2, vcc_lo, s45, v4, vcc_lo
	v_add_co_u32 v3, vcc_lo, s46, v3
	v_add_co_ci_u32_e32 v4, vcc_lo, s47, v4, vcc_lo
	.p2align	6
.LBB38_79:                              ; =>This Inner Loop Header: Depth=1
	v_add_nc_u32_e32 v0, 0x100, v0
	global_store_b32 v[1:2], v5, off
	global_store_b32 v[3:4], v7, off
	v_add_co_u32 v1, vcc_lo, 0x400, v1
	v_add_co_ci_u32_e32 v2, vcc_lo, 0, v2, vcc_lo
	v_cmp_ge_i32_e32 vcc_lo, v0, v6
	v_add_co_u32 v3, s0, 0x400, v3
	s_delay_alu instid0(VALU_DEP_1) | instskip(SKIP_1) | instid1(SALU_CYCLE_1)
	v_add_co_ci_u32_e64 v4, s0, 0, v4, s0
	s_or_b32 s1, vcc_lo, s1
	s_and_not1_b32 exec_lo, exec_lo, s1
	s_cbranch_execnz .LBB38_79
.LBB38_80:
	s_nop 0
	s_sendmsg sendmsg(MSG_DEALLOC_VGPRS)
	s_endpgm
	.section	.rodata,"a",@progbits
	.p2align	6, 0x0
	.amdhsa_kernel _ZN5aiter22opus_moe_sorting_entryINS_30MoeSortingMultiPhaseKernel_P23INS_19MoeSortingProblemMpIifhLi16ELb1ELb0ELb1EEEEENS4_5KargsEEEvT0_
		.amdhsa_group_segment_fixed_size 0
		.amdhsa_private_segment_fixed_size 0
		.amdhsa_kernarg_size 400
		.amdhsa_user_sgpr_count 15
		.amdhsa_user_sgpr_dispatch_ptr 0
		.amdhsa_user_sgpr_queue_ptr 0
		.amdhsa_user_sgpr_kernarg_segment_ptr 1
		.amdhsa_user_sgpr_dispatch_id 0
		.amdhsa_user_sgpr_private_segment_size 0
		.amdhsa_wavefront_size32 1
		.amdhsa_uses_dynamic_stack 0
		.amdhsa_enable_private_segment 0
		.amdhsa_system_sgpr_workgroup_id_x 1
		.amdhsa_system_sgpr_workgroup_id_y 0
		.amdhsa_system_sgpr_workgroup_id_z 0
		.amdhsa_system_sgpr_workgroup_info 0
		.amdhsa_system_vgpr_workitem_id 0
		.amdhsa_next_free_vgpr 64
		.amdhsa_next_free_sgpr 56
		.amdhsa_reserve_vcc 1
		.amdhsa_float_round_mode_32 0
		.amdhsa_float_round_mode_16_64 0
		.amdhsa_float_denorm_mode_32 3
		.amdhsa_float_denorm_mode_16_64 3
		.amdhsa_dx10_clamp 1
		.amdhsa_ieee_mode 1
		.amdhsa_fp16_overflow 0
		.amdhsa_workgroup_processor_mode 1
		.amdhsa_memory_ordered 1
		.amdhsa_forward_progress 0
		.amdhsa_shared_vgpr_count 0
		.amdhsa_exception_fp_ieee_invalid_op 0
		.amdhsa_exception_fp_denorm_src 0
		.amdhsa_exception_fp_ieee_div_zero 0
		.amdhsa_exception_fp_ieee_overflow 0
		.amdhsa_exception_fp_ieee_underflow 0
		.amdhsa_exception_fp_ieee_inexact 0
		.amdhsa_exception_int_div_zero 0
	.end_amdhsa_kernel
	.section	.text._ZN5aiter22opus_moe_sorting_entryINS_30MoeSortingMultiPhaseKernel_P23INS_19MoeSortingProblemMpIifhLi16ELb1ELb0ELb1EEEEENS4_5KargsEEEvT0_,"axG",@progbits,_ZN5aiter22opus_moe_sorting_entryINS_30MoeSortingMultiPhaseKernel_P23INS_19MoeSortingProblemMpIifhLi16ELb1ELb0ELb1EEEEENS4_5KargsEEEvT0_,comdat
.Lfunc_end38:
	.size	_ZN5aiter22opus_moe_sorting_entryINS_30MoeSortingMultiPhaseKernel_P23INS_19MoeSortingProblemMpIifhLi16ELb1ELb0ELb1EEEEENS4_5KargsEEEvT0_, .Lfunc_end38-_ZN5aiter22opus_moe_sorting_entryINS_30MoeSortingMultiPhaseKernel_P23INS_19MoeSortingProblemMpIifhLi16ELb1ELb0ELb1EEEEENS4_5KargsEEEvT0_
                                        ; -- End function
	.section	.AMDGPU.csdata,"",@progbits
; Kernel info:
; codeLenInByte = 6452
; NumSgprs: 58
; NumVgprs: 64
; ScratchSize: 0
; MemoryBound: 0
; FloatMode: 240
; IeeeMode: 1
; LDSByteSize: 0 bytes/workgroup (compile time only)
; SGPRBlocks: 7
; VGPRBlocks: 7
; NumSGPRsForWavesPerEU: 58
; NumVGPRsForWavesPerEU: 64
; Occupancy: 16
; WaveLimiterHint : 0
; COMPUTE_PGM_RSRC2:SCRATCH_EN: 0
; COMPUTE_PGM_RSRC2:USER_SGPR: 15
; COMPUTE_PGM_RSRC2:TRAP_HANDLER: 0
; COMPUTE_PGM_RSRC2:TGID_X_EN: 1
; COMPUTE_PGM_RSRC2:TGID_Y_EN: 0
; COMPUTE_PGM_RSRC2:TGID_Z_EN: 0
; COMPUTE_PGM_RSRC2:TIDIG_COMP_CNT: 0
	.section	.text._ZN5aiter22opus_moe_sorting_entryINS_32MoeSortingMultiPhaseKernel_P0_v2INS_19MoeSortingProblemMpIifhLi4ELb0ELb1ELb1EEEEENS4_5KargsEEEvT0_,"axG",@progbits,_ZN5aiter22opus_moe_sorting_entryINS_32MoeSortingMultiPhaseKernel_P0_v2INS_19MoeSortingProblemMpIifhLi4ELb0ELb1ELb1EEEEENS4_5KargsEEEvT0_,comdat
	.protected	_ZN5aiter22opus_moe_sorting_entryINS_32MoeSortingMultiPhaseKernel_P0_v2INS_19MoeSortingProblemMpIifhLi4ELb0ELb1ELb1EEEEENS4_5KargsEEEvT0_ ; -- Begin function _ZN5aiter22opus_moe_sorting_entryINS_32MoeSortingMultiPhaseKernel_P0_v2INS_19MoeSortingProblemMpIifhLi4ELb0ELb1ELb1EEEEENS4_5KargsEEEvT0_
	.globl	_ZN5aiter22opus_moe_sorting_entryINS_32MoeSortingMultiPhaseKernel_P0_v2INS_19MoeSortingProblemMpIifhLi4ELb0ELb1ELb1EEEEENS4_5KargsEEEvT0_
	.p2align	8
	.type	_ZN5aiter22opus_moe_sorting_entryINS_32MoeSortingMultiPhaseKernel_P0_v2INS_19MoeSortingProblemMpIifhLi4ELb0ELb1ELb1EEEEENS4_5KargsEEEvT0_,@function
_ZN5aiter22opus_moe_sorting_entryINS_32MoeSortingMultiPhaseKernel_P0_v2INS_19MoeSortingProblemMpIifhLi4ELb0ELb1ELb1EEEEENS4_5KargsEEEvT0_: ; @_ZN5aiter22opus_moe_sorting_entryINS_32MoeSortingMultiPhaseKernel_P0_v2INS_19MoeSortingProblemMpIifhLi4ELb0ELb1ELb1EEEEENS4_5KargsEEEvT0_
; %bb.0:
	s_mov_b32 s12, s15
	s_clause 0x1
	s_load_b128 s[8:11], s[0:1], 0x0
	s_load_b64 s[14:15], s[0:1], 0x10
	s_mov_b32 s16, exec_lo
	s_waitcnt lgkmcnt(0)
	s_load_b32 s20, s[10:11], 0x0
	s_load_b128 s[4:7], s[0:1], 0x20
	s_waitcnt lgkmcnt(0)
	s_add_i32 s21, s20, 31
	s_delay_alu instid0(SALU_CYCLE_1) | instskip(NEXT) | instid1(SALU_CYCLE_1)
	s_ashr_i32 s2, s21, 31
	s_lshr_b32 s2, s2, 27
	s_delay_alu instid0(SALU_CYCLE_1) | instskip(NEXT) | instid1(SALU_CYCLE_1)
	s_add_i32 s21, s21, s2
	s_and_b32 s3, s21, 0xffffffe0
	s_delay_alu instid0(SALU_CYCLE_1) | instskip(NEXT) | instid1(SALU_CYCLE_1)
	s_mul_i32 s7, s3, s12
	s_ashr_i32 s13, s7, 31
	s_add_u32 s10, s14, s7
	s_addc_u32 s11, s15, s13
	v_cmpx_gt_i32_e64 s3, v0
	s_cbranch_execz .LBB39_8
; %bb.1:
	v_xad_u32 v2, v0, -1, s3
	v_mov_b32_e32 v1, v0
	s_mov_b32 s17, -1
	s_mov_b32 s2, exec_lo
	s_delay_alu instid0(VALU_DEP_2)
	v_cmpx_lt_u32_e32 0xdff, v2
	s_cbranch_execz .LBB39_5
; %bb.2:
	v_lshrrev_b32_e32 v1, 9, v2
	v_add_nc_u32_e32 v3, 0x600, v0
	v_or_b32_e32 v2, 0x400, v0
	s_mov_b32 s17, 0
	v_mov_b32_e32 v7, 0
	v_add_nc_u32_e32 v5, 1, v1
	v_add_nc_u32_e32 v1, 0x200, v0
	v_mov_b32_e32 v4, v3
	v_mov_b32_e32 v3, v2
	s_delay_alu instid0(VALU_DEP_3) | instskip(SKIP_1) | instid1(VALU_DEP_1)
	v_mov_b32_e32 v2, v1
	v_dual_mov_b32 v1, v0 :: v_dual_and_b32 v6, 0xfffff8, v5
	v_mov_b32_e32 v8, v6
.LBB39_3:                               ; =>This Inner Loop Header: Depth=1
	s_delay_alu instid0(VALU_DEP_2) | instskip(NEXT) | instid1(VALU_DEP_1)
	v_add_co_u32 v9, s18, s10, v1
	v_add_co_ci_u32_e64 v10, null, s11, 0, s18
	v_add_co_u32 v11, s18, s10, v2
	v_add_nc_u32_e32 v17, 0x800, v1
	v_add_co_ci_u32_e64 v12, null, s11, 0, s18
	v_add_co_u32 v13, s18, s10, v3
	v_add_nc_u32_e32 v19, 0x800, v2
	;; [unrolled: 3-line block ×3, first 2 shown]
	v_add_co_ci_u32_e64 v16, null, s11, 0, s18
	v_add_nc_u32_e32 v8, -8, v8
	v_add_co_u32 v17, s18, s10, v17
	v_add_nc_u32_e32 v23, 0x800, v4
	v_add_co_ci_u32_e64 v18, null, s11, 0, s18
	v_add_co_u32 v19, s18, s10, v19
	s_delay_alu instid0(VALU_DEP_1)
	v_add_co_ci_u32_e64 v20, null, s11, 0, s18
	v_add_co_u32 v21, s18, s10, v21
	v_cmp_eq_u32_e32 vcc_lo, 0, v8
	v_add_co_ci_u32_e64 v22, null, s11, 0, s18
	v_add_co_u32 v23, s18, s10, v23
	v_add_nc_u32_e32 v4, 0x1000, v4
	v_add_nc_u32_e32 v3, 0x1000, v3
	;; [unrolled: 1-line block ×4, first 2 shown]
	v_add_co_ci_u32_e64 v24, null, s11, 0, s18
	s_or_b32 s17, vcc_lo, s17
	s_clause 0x7
	global_store_b8 v[9:10], v7, off
	global_store_b8 v[11:12], v7, off
	;; [unrolled: 1-line block ×8, first 2 shown]
	s_and_not1_b32 exec_lo, exec_lo, s17
	s_cbranch_execnz .LBB39_3
; %bb.4:
	s_or_b32 exec_lo, exec_lo, s17
	v_cmp_ne_u32_e32 vcc_lo, v5, v6
	v_lshl_or_b32 v1, v6, 9, v0
	s_or_not1_b32 s17, vcc_lo, exec_lo
.LBB39_5:
	s_or_b32 exec_lo, exec_lo, s2
	s_delay_alu instid0(SALU_CYCLE_1)
	s_and_b32 exec_lo, exec_lo, s17
	s_cbranch_execz .LBB39_8
; %bb.6:
	v_mov_b32_e32 v2, 0
	s_mov_b32 s17, 0
	s_delay_alu instid0(VALU_DEP_1)
	v_dual_mov_b32 v4, v2 :: v_dual_mov_b32 v3, v1
.LBB39_7:                               ; =>This Inner Loop Header: Depth=1
	s_delay_alu instid0(VALU_DEP_1) | instskip(SKIP_1) | instid1(VALU_DEP_3)
	v_add_co_u32 v5, vcc_lo, s10, v3
	v_add_co_u32 v3, s2, 0x200, v3
	v_add_co_ci_u32_e32 v6, vcc_lo, s11, v4, vcc_lo
	v_add_co_ci_u32_e64 v4, vcc_lo, 0, v4, s2
	s_delay_alu instid0(VALU_DEP_3) | instskip(SKIP_2) | instid1(SALU_CYCLE_1)
	v_cmp_le_i32_e32 vcc_lo, s3, v3
	global_store_b8 v[5:6], v2, off
	s_or_b32 s17, vcc_lo, s17
	s_and_not1_b32 exec_lo, exec_lo, s17
	s_cbranch_execnz .LBB39_7
.LBB39_8:
	s_or_b32 exec_lo, exec_lo, s16
	s_load_b64 s[2:3], s[0:1], 0x38
	s_add_i32 s0, s20, 3
	s_mov_b32 s22, exec_lo
	s_ashr_i32 s1, s0, 31
	s_waitcnt lgkmcnt(0)
	s_waitcnt_vscnt null, 0x0
	s_lshr_b32 s1, s1, 30
	s_barrier
	s_add_i32 s0, s0, s1
	buffer_gl0_inv
	s_lshr_b32 s0, s0, 2
	s_delay_alu instid0(SALU_CYCLE_1) | instskip(NEXT) | instid1(SALU_CYCLE_1)
	s_mul_i32 s1, s4, s0
	s_and_not1_b32 s1, s1, -2.0
	s_delay_alu instid0(SALU_CYCLE_1)
	v_cmpx_gt_u32_e64 s1, v0
	s_cbranch_execz .LBB39_56
; %bb.9:
	v_xad_u32 v16, v0, -1, s1
	v_mov_b32_e32 v5, v0
	s_mov_b32 s17, 0
	s_mov_b32 s16, s5
	s_mov_b32 s5, exec_lo
	v_lshrrev_b32_e32 v1, 9, v16
	s_delay_alu instid0(VALU_DEP_1) | instskip(NEXT) | instid1(VALU_DEP_1)
	v_add_nc_u32_e32 v1, 1, v1
	v_and_b32_e32 v1, 3, v1
	s_delay_alu instid0(VALU_DEP_1)
	v_cmpx_ne_u32_e32 0, v1
	s_cbranch_execz .LBB39_21
; %bb.10:
	v_lshlrev_b32_e32 v17, 2, v0
	v_mad_u64_u32 v[2:3], null, v0, s16, 0
	v_lshlrev_b32_e32 v14, 4, v0
	v_lshlrev_b32_e32 v18, 11, v1
	s_delay_alu instid0(VALU_DEP_4) | instskip(SKIP_3) | instid1(VALU_DEP_4)
	v_or_b32_e32 v4, 3, v17
	v_or_b32_e32 v5, 2, v17
	v_mad_u64_u32 v[10:11], null, s16, v17, s[16:17]
	v_lshlrev_b64 v[12:13], 2, v[2:3]
	v_mad_u64_u32 v[6:7], null, v4, s16, 0
	s_delay_alu instid0(VALU_DEP_4) | instskip(SKIP_2) | instid1(VALU_DEP_1)
	v_mad_u64_u32 v[8:9], null, v5, s16, 0
	v_mov_b32_e32 v5, v0
	v_add_co_u32 v14, s0, s8, v14
	v_add_co_ci_u32_e64 v15, null, s9, 0, s0
	s_sub_i32 s23, 0, s4
	s_lshl_b64 s[18:19], s[16:17], 11
	s_mov_b32 s24, s17
	s_branch .LBB39_12
.LBB39_11:                              ;   in Loop: Header=BB39_12 Depth=1
	s_or_b32 exec_lo, exec_lo, s0
	v_add_co_u32 v6, vcc_lo, v6, s18
	v_add_co_ci_u32_e32 v7, vcc_lo, s19, v7, vcc_lo
	v_add_co_u32 v8, vcc_lo, v8, s18
	v_add_co_ci_u32_e32 v9, vcc_lo, s19, v9, vcc_lo
	;; [unrolled: 2-line block ×3, first 2 shown]
	v_add_co_u32 v12, vcc_lo, v12, s18
	s_addk_i32 s24, 0x800
	v_add_co_ci_u32_e32 v13, vcc_lo, s19, v13, vcc_lo
	v_cmp_eq_u32_e32 vcc_lo, s24, v18
	v_add_co_u32 v14, s0, 0x2000, v14
	v_add_nc_u32_e32 v5, 0x200, v5
	v_add_co_ci_u32_e64 v15, s0, 0, v15, s0
	s_or_b32 s17, vcc_lo, s17
	s_delay_alu instid0(SALU_CYCLE_1)
	s_and_not1_b32 exec_lo, exec_lo, s17
	s_cbranch_execz .LBB39_20
.LBB39_12:                              ; =>This Inner Loop Header: Depth=1
	global_load_b128 v[1:4], v[14:15], off
	v_add3_u32 v19, v17, v13, s24
	s_delay_alu instid0(VALU_DEP_1) | instskip(NEXT) | instid1(VALU_DEP_1)
	v_lshrrev_b32_e32 v19, s6, v19
	v_cmp_gt_i32_e64 s0, s20, v19
	s_waitcnt vmcnt(0)
	v_cmp_eq_u32_e32 vcc_lo, s12, v1
	s_delay_alu instid0(VALU_DEP_2) | instskip(NEXT) | instid1(SALU_CYCLE_1)
	s_and_b32 s25, vcc_lo, s0
	s_and_saveexec_b32 s0, s25
	s_cbranch_execz .LBB39_14
; %bb.13:                               ;   in Loop: Header=BB39_12 Depth=1
	v_mul_lo_u32 v1, s23, v19
	s_delay_alu instid0(VALU_DEP_1) | instskip(NEXT) | instid1(VALU_DEP_1)
	v_add3_u32 v1, v17, s24, v1
	v_add_nc_u16 v1, v1, 1
	global_store_b8 v19, v1, s[10:11]
.LBB39_14:                              ;   in Loop: Header=BB39_12 Depth=1
	s_or_b32 exec_lo, exec_lo, s0
	v_add_nc_u32_e32 v1, s24, v17
	v_cmp_eq_u32_e32 vcc_lo, s12, v2
	s_delay_alu instid0(VALU_DEP_2) | instskip(NEXT) | instid1(VALU_DEP_1)
	v_add3_u32 v19, v11, v1, 1
	v_lshrrev_b32_e32 v19, s6, v19
	s_delay_alu instid0(VALU_DEP_1) | instskip(NEXT) | instid1(VALU_DEP_1)
	v_cmp_gt_i32_e64 s0, s20, v19
	s_and_b32 s25, vcc_lo, s0
	s_delay_alu instid0(SALU_CYCLE_1)
	s_and_saveexec_b32 s0, s25
	s_cbranch_execz .LBB39_16
; %bb.15:                               ;   in Loop: Header=BB39_12 Depth=1
	v_mad_u64_u32 v[20:21], null, s23, v19, v[1:2]
	s_delay_alu instid0(VALU_DEP_1)
	v_add_nc_u16 v2, v20, 2
	global_store_b8 v19, v2, s[10:11]
.LBB39_16:                              ;   in Loop: Header=BB39_12 Depth=1
	s_or_b32 exec_lo, exec_lo, s0
	v_add3_u32 v2, v9, v1, 2
	v_cmp_eq_u32_e32 vcc_lo, s12, v3
	s_delay_alu instid0(VALU_DEP_2) | instskip(NEXT) | instid1(VALU_DEP_1)
	v_lshrrev_b32_e32 v2, s6, v2
	v_cmp_gt_i32_e64 s0, s20, v2
	s_delay_alu instid0(VALU_DEP_1) | instskip(NEXT) | instid1(SALU_CYCLE_1)
	s_and_b32 s25, vcc_lo, s0
	s_and_saveexec_b32 s0, s25
	s_cbranch_execz .LBB39_18
; %bb.17:                               ;   in Loop: Header=BB39_12 Depth=1
	v_mad_u64_u32 v[19:20], null, s23, v2, v[1:2]
	s_delay_alu instid0(VALU_DEP_1)
	v_add_nc_u16 v3, v19, 3
	global_store_b8 v2, v3, s[10:11]
.LBB39_18:                              ;   in Loop: Header=BB39_12 Depth=1
	s_or_b32 exec_lo, exec_lo, s0
	v_add3_u32 v2, v7, v1, 3
	v_cmp_eq_u32_e32 vcc_lo, s12, v4
	s_delay_alu instid0(VALU_DEP_2) | instskip(NEXT) | instid1(VALU_DEP_1)
	v_lshrrev_b32_e32 v2, s6, v2
	v_cmp_gt_i32_e64 s0, s20, v2
	s_delay_alu instid0(VALU_DEP_1) | instskip(NEXT) | instid1(SALU_CYCLE_1)
	s_and_b32 s25, vcc_lo, s0
	s_and_saveexec_b32 s0, s25
	s_cbranch_execz .LBB39_11
; %bb.19:                               ;   in Loop: Header=BB39_12 Depth=1
	v_mad_u64_u32 v[3:4], null, s23, v2, v[1:2]
	s_delay_alu instid0(VALU_DEP_1)
	v_add_nc_u16 v1, v3, 4
	global_store_b8 v2, v1, s[10:11]
	s_branch .LBB39_11
.LBB39_20:
	s_or_b32 exec_lo, exec_lo, s17
.LBB39_21:
	s_delay_alu instid0(SALU_CYCLE_1)
	s_or_b32 exec_lo, exec_lo, s5
	v_cmp_lt_u32_e32 vcc_lo, 0x5ff, v16
	s_and_b32 exec_lo, exec_lo, vcc_lo
	s_cbranch_execz .LBB39_56
; %bb.22:
	v_lshlrev_b32_e32 v10, 2, v5
	v_mov_b32_e32 v6, 0
	s_mov_b32 s5, 0
	s_sub_i32 s4, 0, s4
	s_delay_alu instid0(VALU_DEP_2) | instskip(NEXT) | instid1(VALU_DEP_2)
	v_add_nc_u32_e32 v7, 0x1803, v10
	v_lshlrev_b64 v[1:2], 4, v[5:6]
	v_add_nc_u32_e32 v6, 0x1802, v10
	v_add_nc_u32_e32 v11, 0x1801, v10
	;; [unrolled: 1-line block ×5, first 2 shown]
	v_add_co_u32 v8, vcc_lo, s8, v1
	v_add_co_ci_u32_e32 v9, vcc_lo, s9, v2, vcc_lo
	v_add_nc_u32_e32 v15, 0x1001, v10
	v_add_nc_u32_e32 v16, 0x1000, v10
	v_or_b32_e32 v17, 1, v10
	v_or_b32_e32 v18, 2, v10
	;; [unrolled: 1-line block ×3, first 2 shown]
	v_add_nc_u32_e32 v20, 0x803, v10
	v_add_nc_u32_e32 v21, 0x802, v10
	;; [unrolled: 1-line block ×4, first 2 shown]
	s_branch .LBB39_24
.LBB39_23:                              ;   in Loop: Header=BB39_24 Depth=1
	s_or_b32 exec_lo, exec_lo, s0
	v_add_nc_u32_e32 v5, 0x800, v5
	v_add_co_u32 v8, vcc_lo, 0x8000, v8
	v_add_co_ci_u32_e32 v9, vcc_lo, 0, v9, vcc_lo
	s_delay_alu instid0(VALU_DEP_3)
	v_cmp_le_u32_e32 vcc_lo, s1, v5
	v_add_nc_u32_e32 v7, 0x2000, v7
	v_add_nc_u32_e32 v6, 0x2000, v6
	v_add_nc_u32_e32 v11, 0x2000, v11
	v_add_nc_u32_e32 v12, 0x2000, v12
	v_add_nc_u32_e32 v13, 0x2000, v13
	v_add_nc_u32_e32 v14, 0x2000, v14
	v_add_nc_u32_e32 v15, 0x2000, v15
	v_add_nc_u32_e32 v16, 0x2000, v16
	v_add_nc_u32_e32 v10, 0x2000, v10
	v_add_nc_u32_e32 v17, 0x2000, v17
	v_add_nc_u32_e32 v18, 0x2000, v18
	v_add_nc_u32_e32 v19, 0x2000, v19
	v_add_nc_u32_e32 v20, 0x2000, v20
	v_add_nc_u32_e32 v21, 0x2000, v21
	v_add_nc_u32_e32 v22, 0x2000, v22
	v_add_nc_u32_e32 v23, 0x2000, v23
	s_or_b32 s5, vcc_lo, s5
	s_delay_alu instid0(SALU_CYCLE_1)
	s_and_not1_b32 exec_lo, exec_lo, s5
	s_cbranch_execz .LBB39_56
.LBB39_24:                              ; =>This Inner Loop Header: Depth=1
	global_load_b128 v[1:4], v[8:9], off
	v_mul_hi_u32 v24, s16, v10
	s_delay_alu instid0(VALU_DEP_1) | instskip(NEXT) | instid1(VALU_DEP_1)
	v_add3_u32 v24, v7, v24, 0xffffe7fd
	v_lshrrev_b32_e32 v24, s6, v24
	s_delay_alu instid0(VALU_DEP_1) | instskip(SKIP_2) | instid1(VALU_DEP_2)
	v_cmp_gt_i32_e64 s0, s20, v24
	s_waitcnt vmcnt(0)
	v_cmp_eq_u32_e32 vcc_lo, s12, v1
	s_and_b32 s8, vcc_lo, s0
	s_delay_alu instid0(SALU_CYCLE_1)
	s_and_saveexec_b32 s0, s8
	s_cbranch_execz .LBB39_26
; %bb.25:                               ;   in Loop: Header=BB39_24 Depth=1
	v_mad_u64_u32 v[25:26], null, s4, v24, v[7:8]
	s_delay_alu instid0(VALU_DEP_1)
	v_add_nc_u16 v1, v25, -2
	global_store_b8 v24, v1, s[10:11]
.LBB39_26:                              ;   in Loop: Header=BB39_24 Depth=1
	s_or_b32 exec_lo, exec_lo, s0
	v_mul_hi_u32 v1, s16, v17
	v_cmp_eq_u32_e32 vcc_lo, s12, v2
	s_delay_alu instid0(VALU_DEP_2) | instskip(NEXT) | instid1(VALU_DEP_1)
	v_add3_u32 v1, v7, v1, 0xffffe7fe
	v_lshrrev_b32_e32 v1, s6, v1
	s_delay_alu instid0(VALU_DEP_1) | instskip(NEXT) | instid1(VALU_DEP_1)
	v_cmp_gt_i32_e64 s0, s20, v1
	s_and_b32 s8, vcc_lo, s0
	s_delay_alu instid0(SALU_CYCLE_1)
	s_and_saveexec_b32 s0, s8
	s_cbranch_execz .LBB39_28
; %bb.27:                               ;   in Loop: Header=BB39_24 Depth=1
	v_mad_u64_u32 v[24:25], null, s4, v1, v[7:8]
	s_delay_alu instid0(VALU_DEP_1)
	v_add_nc_u16 v2, v24, -1
	global_store_b8 v1, v2, s[10:11]
.LBB39_28:                              ;   in Loop: Header=BB39_24 Depth=1
	s_or_b32 exec_lo, exec_lo, s0
	v_mul_hi_u32 v1, s16, v18
	v_cmp_eq_u32_e32 vcc_lo, s12, v3
	s_delay_alu instid0(VALU_DEP_2) | instskip(NEXT) | instid1(VALU_DEP_1)
	v_add3_u32 v1, v7, v1, 0xffffe7ff
	v_lshrrev_b32_e32 v1, s6, v1
	s_delay_alu instid0(VALU_DEP_1) | instskip(NEXT) | instid1(VALU_DEP_1)
	v_cmp_gt_i32_e64 s0, s20, v1
	s_and_b32 s8, vcc_lo, s0
	s_delay_alu instid0(SALU_CYCLE_1)
	s_and_saveexec_b32 s0, s8
	s_cbranch_execz .LBB39_30
; %bb.29:                               ;   in Loop: Header=BB39_24 Depth=1
	v_mad_u64_u32 v[2:3], null, s4, v1, v[7:8]
	global_store_b8 v1, v2, s[10:11]
.LBB39_30:                              ;   in Loop: Header=BB39_24 Depth=1
	s_or_b32 exec_lo, exec_lo, s0
	v_mul_hi_u32 v1, s16, v19
	v_cmp_eq_u32_e32 vcc_lo, s12, v4
	s_delay_alu instid0(VALU_DEP_2) | instskip(NEXT) | instid1(VALU_DEP_1)
	v_add3_u32 v1, v7, v1, 0xffffe800
	v_lshrrev_b32_e32 v1, s6, v1
	s_delay_alu instid0(VALU_DEP_1) | instskip(NEXT) | instid1(VALU_DEP_1)
	v_cmp_gt_i32_e64 s0, s20, v1
	s_and_b32 s8, vcc_lo, s0
	s_delay_alu instid0(SALU_CYCLE_1)
	s_and_saveexec_b32 s0, s8
	s_cbranch_execz .LBB39_32
; %bb.31:                               ;   in Loop: Header=BB39_24 Depth=1
	v_mad_u64_u32 v[2:3], null, s4, v1, v[7:8]
	s_delay_alu instid0(VALU_DEP_1)
	v_add_nc_u16 v2, v2, 1
	global_store_b8 v1, v2, s[10:11]
.LBB39_32:                              ;   in Loop: Header=BB39_24 Depth=1
	s_or_b32 exec_lo, exec_lo, s0
	v_add_co_u32 v1, vcc_lo, 0x2000, v8
	v_add_co_ci_u32_e32 v2, vcc_lo, 0, v9, vcc_lo
	v_mul_hi_u32 v24, s16, v23
	global_load_b128 v[1:4], v[1:2], off
	v_add3_u32 v24, v7, v24, 0xffffeffd
	s_delay_alu instid0(VALU_DEP_1) | instskip(NEXT) | instid1(VALU_DEP_1)
	v_lshrrev_b32_e32 v24, s6, v24
	v_cmp_gt_i32_e64 s0, s20, v24
	s_waitcnt vmcnt(0)
	v_cmp_eq_u32_e32 vcc_lo, s12, v1
	s_delay_alu instid0(VALU_DEP_2) | instskip(NEXT) | instid1(SALU_CYCLE_1)
	s_and_b32 s8, vcc_lo, s0
	s_and_saveexec_b32 s0, s8
	s_cbranch_execz .LBB39_34
; %bb.33:                               ;   in Loop: Header=BB39_24 Depth=1
	v_mad_u64_u32 v[25:26], null, s4, v24, v[7:8]
	s_delay_alu instid0(VALU_DEP_1)
	v_add_nc_u16 v1, v25, -2
	global_store_b8 v24, v1, s[10:11]
.LBB39_34:                              ;   in Loop: Header=BB39_24 Depth=1
	s_or_b32 exec_lo, exec_lo, s0
	v_mul_hi_u32 v1, s16, v22
	v_cmp_eq_u32_e32 vcc_lo, s12, v2
	s_delay_alu instid0(VALU_DEP_2) | instskip(NEXT) | instid1(VALU_DEP_1)
	v_add3_u32 v1, v7, v1, 0xffffeffe
	v_lshrrev_b32_e32 v1, s6, v1
	s_delay_alu instid0(VALU_DEP_1) | instskip(NEXT) | instid1(VALU_DEP_1)
	v_cmp_gt_i32_e64 s0, s20, v1
	s_and_b32 s8, vcc_lo, s0
	s_delay_alu instid0(SALU_CYCLE_1)
	s_and_saveexec_b32 s0, s8
	s_cbranch_execz .LBB39_36
; %bb.35:                               ;   in Loop: Header=BB39_24 Depth=1
	v_mad_u64_u32 v[24:25], null, s4, v1, v[7:8]
	s_delay_alu instid0(VALU_DEP_1)
	v_add_nc_u16 v2, v24, -1
	global_store_b8 v1, v2, s[10:11]
.LBB39_36:                              ;   in Loop: Header=BB39_24 Depth=1
	s_or_b32 exec_lo, exec_lo, s0
	v_mul_hi_u32 v1, s16, v21
	v_cmp_eq_u32_e32 vcc_lo, s12, v3
	s_delay_alu instid0(VALU_DEP_2) | instskip(NEXT) | instid1(VALU_DEP_1)
	v_add3_u32 v1, v7, v1, 0xffffefff
	v_lshrrev_b32_e32 v1, s6, v1
	s_delay_alu instid0(VALU_DEP_1) | instskip(NEXT) | instid1(VALU_DEP_1)
	v_cmp_gt_i32_e64 s0, s20, v1
	s_and_b32 s8, vcc_lo, s0
	s_delay_alu instid0(SALU_CYCLE_1)
	s_and_saveexec_b32 s0, s8
	s_cbranch_execz .LBB39_38
; %bb.37:                               ;   in Loop: Header=BB39_24 Depth=1
	v_mad_u64_u32 v[2:3], null, s4, v1, v[7:8]
	global_store_b8 v1, v2, s[10:11]
.LBB39_38:                              ;   in Loop: Header=BB39_24 Depth=1
	s_or_b32 exec_lo, exec_lo, s0
	v_mul_hi_u32 v1, s16, v20
	v_cmp_eq_u32_e32 vcc_lo, s12, v4
	s_delay_alu instid0(VALU_DEP_2) | instskip(NEXT) | instid1(VALU_DEP_1)
	v_add3_u32 v1, v7, v1, 0xfffff000
	v_lshrrev_b32_e32 v1, s6, v1
	s_delay_alu instid0(VALU_DEP_1) | instskip(NEXT) | instid1(VALU_DEP_1)
	v_cmp_gt_i32_e64 s0, s20, v1
	s_and_b32 s8, vcc_lo, s0
	s_delay_alu instid0(SALU_CYCLE_1)
	s_and_saveexec_b32 s0, s8
	s_cbranch_execz .LBB39_40
; %bb.39:                               ;   in Loop: Header=BB39_24 Depth=1
	v_mad_u64_u32 v[2:3], null, s4, v1, v[7:8]
	s_delay_alu instid0(VALU_DEP_1)
	v_add_nc_u16 v2, v2, 1
	global_store_b8 v1, v2, s[10:11]
.LBB39_40:                              ;   in Loop: Header=BB39_24 Depth=1
	s_or_b32 exec_lo, exec_lo, s0
	v_add_co_u32 v1, vcc_lo, 0x4000, v8
	v_add_co_ci_u32_e32 v2, vcc_lo, 0, v9, vcc_lo
	v_mul_hi_u32 v24, s16, v16
	global_load_b128 v[1:4], v[1:2], off
	v_add3_u32 v24, v7, v24, 0xfffff7fd
	s_delay_alu instid0(VALU_DEP_1) | instskip(NEXT) | instid1(VALU_DEP_1)
	v_lshrrev_b32_e32 v24, s6, v24
	v_cmp_gt_i32_e64 s0, s20, v24
	s_waitcnt vmcnt(0)
	v_cmp_eq_u32_e32 vcc_lo, s12, v1
	s_delay_alu instid0(VALU_DEP_2) | instskip(NEXT) | instid1(SALU_CYCLE_1)
	s_and_b32 s8, vcc_lo, s0
	s_and_saveexec_b32 s0, s8
	s_cbranch_execz .LBB39_42
; %bb.41:                               ;   in Loop: Header=BB39_24 Depth=1
	v_mad_u64_u32 v[25:26], null, s4, v24, v[7:8]
	s_delay_alu instid0(VALU_DEP_1)
	v_add_nc_u16 v1, v25, -2
	global_store_b8 v24, v1, s[10:11]
.LBB39_42:                              ;   in Loop: Header=BB39_24 Depth=1
	s_or_b32 exec_lo, exec_lo, s0
	v_mul_hi_u32 v1, s16, v15
	v_cmp_eq_u32_e32 vcc_lo, s12, v2
	s_delay_alu instid0(VALU_DEP_2) | instskip(NEXT) | instid1(VALU_DEP_1)
	v_add3_u32 v1, v7, v1, 0xfffff7fe
	v_lshrrev_b32_e32 v1, s6, v1
	s_delay_alu instid0(VALU_DEP_1) | instskip(NEXT) | instid1(VALU_DEP_1)
	v_cmp_gt_i32_e64 s0, s20, v1
	s_and_b32 s8, vcc_lo, s0
	s_delay_alu instid0(SALU_CYCLE_1)
	s_and_saveexec_b32 s0, s8
	s_cbranch_execz .LBB39_44
; %bb.43:                               ;   in Loop: Header=BB39_24 Depth=1
	v_mad_u64_u32 v[24:25], null, s4, v1, v[7:8]
	s_delay_alu instid0(VALU_DEP_1)
	v_add_nc_u16 v2, v24, -1
	global_store_b8 v1, v2, s[10:11]
.LBB39_44:                              ;   in Loop: Header=BB39_24 Depth=1
	s_or_b32 exec_lo, exec_lo, s0
	v_mul_hi_u32 v1, s16, v14
	v_cmp_eq_u32_e32 vcc_lo, s12, v3
	s_delay_alu instid0(VALU_DEP_2) | instskip(NEXT) | instid1(VALU_DEP_1)
	v_add3_u32 v1, v7, v1, 0xfffff7ff
	v_lshrrev_b32_e32 v1, s6, v1
	s_delay_alu instid0(VALU_DEP_1) | instskip(NEXT) | instid1(VALU_DEP_1)
	v_cmp_gt_i32_e64 s0, s20, v1
	s_and_b32 s8, vcc_lo, s0
	s_delay_alu instid0(SALU_CYCLE_1)
	s_and_saveexec_b32 s0, s8
	s_cbranch_execz .LBB39_46
; %bb.45:                               ;   in Loop: Header=BB39_24 Depth=1
	v_mad_u64_u32 v[2:3], null, s4, v1, v[7:8]
	global_store_b8 v1, v2, s[10:11]
.LBB39_46:                              ;   in Loop: Header=BB39_24 Depth=1
	s_or_b32 exec_lo, exec_lo, s0
	v_mul_hi_u32 v1, s16, v13
	v_cmp_eq_u32_e32 vcc_lo, s12, v4
	s_delay_alu instid0(VALU_DEP_2) | instskip(NEXT) | instid1(VALU_DEP_1)
	v_add3_u32 v1, v7, v1, 0xfffff800
	v_lshrrev_b32_e32 v1, s6, v1
	s_delay_alu instid0(VALU_DEP_1) | instskip(NEXT) | instid1(VALU_DEP_1)
	v_cmp_gt_i32_e64 s0, s20, v1
	s_and_b32 s8, vcc_lo, s0
	s_delay_alu instid0(SALU_CYCLE_1)
	s_and_saveexec_b32 s0, s8
	s_cbranch_execz .LBB39_48
; %bb.47:                               ;   in Loop: Header=BB39_24 Depth=1
	v_mad_u64_u32 v[2:3], null, s4, v1, v[7:8]
	s_delay_alu instid0(VALU_DEP_1)
	v_add_nc_u16 v2, v2, 1
	global_store_b8 v1, v2, s[10:11]
.LBB39_48:                              ;   in Loop: Header=BB39_24 Depth=1
	s_or_b32 exec_lo, exec_lo, s0
	v_add_co_u32 v1, vcc_lo, 0x6000, v8
	v_add_co_ci_u32_e32 v2, vcc_lo, 0, v9, vcc_lo
	v_mul_hi_u32 v24, s16, v12
	global_load_b128 v[1:4], v[1:2], off
	v_add3_u32 v24, v7, v24, -3
	s_delay_alu instid0(VALU_DEP_1) | instskip(NEXT) | instid1(VALU_DEP_1)
	v_lshrrev_b32_e32 v24, s6, v24
	v_cmp_gt_i32_e64 s0, s20, v24
	s_waitcnt vmcnt(0)
	v_cmp_eq_u32_e32 vcc_lo, s12, v1
	s_delay_alu instid0(VALU_DEP_2) | instskip(NEXT) | instid1(SALU_CYCLE_1)
	s_and_b32 s8, vcc_lo, s0
	s_and_saveexec_b32 s0, s8
	s_cbranch_execz .LBB39_50
; %bb.49:                               ;   in Loop: Header=BB39_24 Depth=1
	v_mad_u64_u32 v[25:26], null, s4, v24, v[7:8]
	s_delay_alu instid0(VALU_DEP_1)
	v_add_nc_u16 v1, v25, -2
	global_store_b8 v24, v1, s[10:11]
.LBB39_50:                              ;   in Loop: Header=BB39_24 Depth=1
	s_or_b32 exec_lo, exec_lo, s0
	v_mul_hi_u32 v1, s16, v11
	v_cmp_eq_u32_e32 vcc_lo, s12, v2
	s_delay_alu instid0(VALU_DEP_2) | instskip(NEXT) | instid1(VALU_DEP_1)
	v_add3_u32 v1, v7, v1, -2
	v_lshrrev_b32_e32 v1, s6, v1
	s_delay_alu instid0(VALU_DEP_1) | instskip(NEXT) | instid1(VALU_DEP_1)
	v_cmp_gt_i32_e64 s0, s20, v1
	s_and_b32 s8, vcc_lo, s0
	s_delay_alu instid0(SALU_CYCLE_1)
	s_and_saveexec_b32 s0, s8
	s_cbranch_execz .LBB39_52
; %bb.51:                               ;   in Loop: Header=BB39_24 Depth=1
	v_mad_u64_u32 v[24:25], null, s4, v1, v[7:8]
	s_delay_alu instid0(VALU_DEP_1)
	v_add_nc_u16 v2, v24, -1
	global_store_b8 v1, v2, s[10:11]
.LBB39_52:                              ;   in Loop: Header=BB39_24 Depth=1
	s_or_b32 exec_lo, exec_lo, s0
	v_mul_hi_u32 v1, s16, v6
	v_cmp_eq_u32_e32 vcc_lo, s12, v3
	s_delay_alu instid0(VALU_DEP_2) | instskip(NEXT) | instid1(VALU_DEP_1)
	v_add3_u32 v1, v7, v1, -1
	v_lshrrev_b32_e32 v1, s6, v1
	s_delay_alu instid0(VALU_DEP_1) | instskip(NEXT) | instid1(VALU_DEP_1)
	v_cmp_gt_i32_e64 s0, s20, v1
	s_and_b32 s8, vcc_lo, s0
	s_delay_alu instid0(SALU_CYCLE_1)
	s_and_saveexec_b32 s0, s8
	s_cbranch_execz .LBB39_54
; %bb.53:                               ;   in Loop: Header=BB39_24 Depth=1
	v_mad_u64_u32 v[2:3], null, s4, v1, v[7:8]
	global_store_b8 v1, v2, s[10:11]
.LBB39_54:                              ;   in Loop: Header=BB39_24 Depth=1
	s_or_b32 exec_lo, exec_lo, s0
	v_mul_hi_u32 v1, s16, v7
	v_cmp_eq_u32_e32 vcc_lo, s12, v4
	s_delay_alu instid0(VALU_DEP_2) | instskip(NEXT) | instid1(VALU_DEP_1)
	v_add_nc_u32_e32 v1, v7, v1
	v_lshrrev_b32_e32 v1, s6, v1
	s_delay_alu instid0(VALU_DEP_1) | instskip(NEXT) | instid1(VALU_DEP_1)
	v_cmp_gt_i32_e64 s0, s20, v1
	s_and_b32 s8, vcc_lo, s0
	s_delay_alu instid0(SALU_CYCLE_1)
	s_and_saveexec_b32 s0, s8
	s_cbranch_execz .LBB39_23
; %bb.55:                               ;   in Loop: Header=BB39_24 Depth=1
	v_mad_u64_u32 v[2:3], null, s4, v1, v[7:8]
	s_delay_alu instid0(VALU_DEP_1)
	v_add_nc_u16 v2, v2, 1
	global_store_b8 v1, v2, s[10:11]
	s_branch .LBB39_23
.LBB39_56:
	s_or_b32 exec_lo, exec_lo, s22
	s_ashr_i32 s0, s21, 5
	s_cmp_lt_i32 s20, 1
	s_waitcnt_vscnt null, 0x0
	s_barrier
	buffer_gl0_inv
	s_cbranch_scc1 .LBB39_61
; %bb.57:
	v_mbcnt_lo_u32_b32 v1, -1, 0
	s_lshl_b32 s0, s0, 3
	v_dual_mov_b32 v3, 0 :: v_dual_lshlrev_b32 v2, 2, v0
	s_add_i32 s1, s0, 0x1ff
	s_delay_alu instid0(VALU_DEP_2)
	v_lshlrev_b32_e32 v1, 2, v1
	s_lshr_b32 s1, s1, 9
	v_mov_b32_e32 v9, v0
	s_max_u32 s1, s1, 1
	s_add_u32 s4, s14, s7
	v_xor_b32_e32 v4, 4, v1
	v_xor_b32_e32 v5, 8, v1
	;; [unrolled: 1-line block ×5, first 2 shown]
	s_addc_u32 s5, s15, s13
	v_add_co_u32 v1, s4, s4, v2
	s_delay_alu instid0(VALU_DEP_1)
	v_add_co_ci_u32_e64 v2, null, s5, 0, s4
	s_branch .LBB39_59
.LBB39_58:                              ;   in Loop: Header=BB39_59 Depth=1
	s_or_b32 exec_lo, exec_lo, s4
	s_waitcnt vmcnt(0)
	v_lshrrev_b32_e32 v11, 8, v10
	v_lshrrev_b32_e32 v12, 16, v10
	v_and_b32_e32 v13, 0xff, v10
	v_lshrrev_b32_e32 v10, 24, v10
	v_add_nc_u32_e32 v9, 0x200, v9
	v_and_b32_e32 v11, 0xff, v11
	v_and_b32_e32 v12, 0xff, v12
	s_add_i32 s1, s1, -1
	s_delay_alu instid0(SALU_CYCLE_1) | instskip(NEXT) | instid1(VALU_DEP_2)
	s_cmp_eq_u32 s1, 0
	v_cmp_ne_u16_e32 vcc_lo, 0, v11
	v_cndmask_b32_e64 v11, 0, 1, vcc_lo
	v_cmp_ne_u16_e32 vcc_lo, 0, v12
	v_cndmask_b32_e64 v12, 0, 1, vcc_lo
	v_cmp_ne_u16_e32 vcc_lo, 0, v13
	s_delay_alu instid0(VALU_DEP_4) | instskip(SKIP_1) | instid1(VALU_DEP_2)
	v_add_co_ci_u32_e32 v11, vcc_lo, 0, v11, vcc_lo
	v_cmp_ne_u16_e32 vcc_lo, 0, v10
	v_add_co_ci_u32_e32 v10, vcc_lo, v11, v12, vcc_lo
	v_add_co_u32 v1, vcc_lo, 0x800, v1
	v_add_co_ci_u32_e32 v2, vcc_lo, 0, v2, vcc_lo
	ds_bpermute_b32 v11, v4, v10
	s_waitcnt lgkmcnt(0)
	v_add_nc_u32_e32 v10, v10, v11
	ds_bpermute_b32 v11, v5, v10
	s_waitcnt lgkmcnt(0)
	v_add_nc_u32_e32 v10, v10, v11
	;; [unrolled: 3-line block ×4, first 2 shown]
	ds_bpermute_b32 v11, v8, v10
	s_waitcnt lgkmcnt(0)
	v_add3_u32 v3, v11, v3, v10
	s_cbranch_scc1 .LBB39_62
.LBB39_59:                              ; =>This Inner Loop Header: Depth=1
	v_mov_b32_e32 v10, 0
	s_mov_b32 s4, exec_lo
	v_cmpx_gt_i32_e64 s0, v9
	s_cbranch_execz .LBB39_58
; %bb.60:                               ;   in Loop: Header=BB39_59 Depth=1
	global_load_b32 v10, v[1:2], off
	s_branch .LBB39_58
.LBB39_61:
	v_mov_b32_e32 v3, 0
.LBB39_62:
	v_and_b32_e32 v1, 31, v0
	s_mov_b32 s0, exec_lo
	s_delay_alu instid0(VALU_DEP_1)
	v_cmpx_eq_u32_e32 0, v1
	s_cbranch_execz .LBB39_64
; %bb.63:
	v_lshrrev_b32_e32 v1, 3, v0
	s_delay_alu instid0(VALU_DEP_1)
	v_and_b32_e32 v1, 0x7c, v1
	ds_store_b32 v1, v3
.LBB39_64:
	s_or_b32 exec_lo, exec_lo, s0
	s_waitcnt lgkmcnt(0)
	s_barrier
	buffer_gl0_inv
	s_mov_b32 s0, exec_lo
	v_cmpx_eq_u32_e32 0, v0
	s_cbranch_execz .LBB39_66
; %bb.65:
	v_mov_b32_e32 v8, 0
	s_ashr_i32 s13, s12, 31
	ds_load_b128 v[0:3], v8
	ds_load_b128 v[4:7], v8 offset:16
	s_lshl_b64 s[0:1], s[12:13], 2
	s_delay_alu instid0(SALU_CYCLE_1) | instskip(SKIP_3) | instid1(VALU_DEP_1)
	s_add_u32 s0, s2, s0
	s_addc_u32 s1, s3, s1
	s_waitcnt lgkmcnt(1)
	v_add_nc_u32_e32 v0, v1, v0
	v_add_nc_u32_e32 v0, v0, v2
	s_delay_alu instid0(VALU_DEP_1) | instskip(SKIP_1) | instid1(VALU_DEP_1)
	v_add_nc_u32_e32 v0, v0, v3
	s_waitcnt lgkmcnt(0)
	v_add_nc_u32_e32 v4, v0, v4
	s_delay_alu instid0(VALU_DEP_1) | instskip(NEXT) | instid1(VALU_DEP_1)
	v_add_nc_u32_e32 v4, v4, v5
	v_add_nc_u32_e32 v4, v4, v6
	s_delay_alu instid0(VALU_DEP_1) | instskip(SKIP_4) | instid1(VALU_DEP_1)
	v_add_nc_u32_e32 v9, v4, v7
	ds_load_b128 v[0:3], v8 offset:32
	ds_load_b128 v[4:7], v8 offset:48
	s_waitcnt lgkmcnt(1)
	v_add_nc_u32_e32 v0, v9, v0
	v_add_nc_u32_e32 v0, v0, v1
	s_delay_alu instid0(VALU_DEP_1) | instskip(NEXT) | instid1(VALU_DEP_1)
	v_add_nc_u32_e32 v0, v0, v2
	v_add_nc_u32_e32 v0, v0, v3
	s_waitcnt lgkmcnt(0)
	s_delay_alu instid0(VALU_DEP_1) | instskip(NEXT) | instid1(VALU_DEP_1)
	v_add_nc_u32_e32 v0, v0, v4
	v_add_nc_u32_e32 v0, v0, v5
	s_delay_alu instid0(VALU_DEP_1) | instskip(NEXT) | instid1(VALU_DEP_1)
	v_add_nc_u32_e32 v0, v0, v6
	v_add_nc_u32_e32 v0, v0, v7
	global_store_b32 v8, v0, s[0:1]
.LBB39_66:
	s_nop 0
	s_sendmsg sendmsg(MSG_DEALLOC_VGPRS)
	s_endpgm
	.section	.rodata,"a",@progbits
	.p2align	6, 0x0
	.amdhsa_kernel _ZN5aiter22opus_moe_sorting_entryINS_32MoeSortingMultiPhaseKernel_P0_v2INS_19MoeSortingProblemMpIifhLi4ELb0ELb1ELb1EEEEENS4_5KargsEEEvT0_
		.amdhsa_group_segment_fixed_size 64
		.amdhsa_private_segment_fixed_size 0
		.amdhsa_kernarg_size 72
		.amdhsa_user_sgpr_count 15
		.amdhsa_user_sgpr_dispatch_ptr 0
		.amdhsa_user_sgpr_queue_ptr 0
		.amdhsa_user_sgpr_kernarg_segment_ptr 1
		.amdhsa_user_sgpr_dispatch_id 0
		.amdhsa_user_sgpr_private_segment_size 0
		.amdhsa_wavefront_size32 1
		.amdhsa_uses_dynamic_stack 0
		.amdhsa_enable_private_segment 0
		.amdhsa_system_sgpr_workgroup_id_x 1
		.amdhsa_system_sgpr_workgroup_id_y 0
		.amdhsa_system_sgpr_workgroup_id_z 0
		.amdhsa_system_sgpr_workgroup_info 0
		.amdhsa_system_vgpr_workitem_id 0
		.amdhsa_next_free_vgpr 27
		.amdhsa_next_free_sgpr 26
		.amdhsa_reserve_vcc 1
		.amdhsa_float_round_mode_32 0
		.amdhsa_float_round_mode_16_64 0
		.amdhsa_float_denorm_mode_32 3
		.amdhsa_float_denorm_mode_16_64 3
		.amdhsa_dx10_clamp 1
		.amdhsa_ieee_mode 1
		.amdhsa_fp16_overflow 0
		.amdhsa_workgroup_processor_mode 1
		.amdhsa_memory_ordered 1
		.amdhsa_forward_progress 0
		.amdhsa_shared_vgpr_count 0
		.amdhsa_exception_fp_ieee_invalid_op 0
		.amdhsa_exception_fp_denorm_src 0
		.amdhsa_exception_fp_ieee_div_zero 0
		.amdhsa_exception_fp_ieee_overflow 0
		.amdhsa_exception_fp_ieee_underflow 0
		.amdhsa_exception_fp_ieee_inexact 0
		.amdhsa_exception_int_div_zero 0
	.end_amdhsa_kernel
	.section	.text._ZN5aiter22opus_moe_sorting_entryINS_32MoeSortingMultiPhaseKernel_P0_v2INS_19MoeSortingProblemMpIifhLi4ELb0ELb1ELb1EEEEENS4_5KargsEEEvT0_,"axG",@progbits,_ZN5aiter22opus_moe_sorting_entryINS_32MoeSortingMultiPhaseKernel_P0_v2INS_19MoeSortingProblemMpIifhLi4ELb0ELb1ELb1EEEEENS4_5KargsEEEvT0_,comdat
.Lfunc_end39:
	.size	_ZN5aiter22opus_moe_sorting_entryINS_32MoeSortingMultiPhaseKernel_P0_v2INS_19MoeSortingProblemMpIifhLi4ELb0ELb1ELb1EEEEENS4_5KargsEEEvT0_, .Lfunc_end39-_ZN5aiter22opus_moe_sorting_entryINS_32MoeSortingMultiPhaseKernel_P0_v2INS_19MoeSortingProblemMpIifhLi4ELb0ELb1ELb1EEEEENS4_5KargsEEEvT0_
                                        ; -- End function
	.section	.AMDGPU.csdata,"",@progbits
; Kernel info:
; codeLenInByte = 3788
; NumSgprs: 28
; NumVgprs: 27
; ScratchSize: 0
; MemoryBound: 0
; FloatMode: 240
; IeeeMode: 1
; LDSByteSize: 64 bytes/workgroup (compile time only)
; SGPRBlocks: 3
; VGPRBlocks: 3
; NumSGPRsForWavesPerEU: 28
; NumVGPRsForWavesPerEU: 27
; Occupancy: 16
; WaveLimiterHint : 1
; COMPUTE_PGM_RSRC2:SCRATCH_EN: 0
; COMPUTE_PGM_RSRC2:USER_SGPR: 15
; COMPUTE_PGM_RSRC2:TRAP_HANDLER: 0
; COMPUTE_PGM_RSRC2:TGID_X_EN: 1
; COMPUTE_PGM_RSRC2:TGID_Y_EN: 0
; COMPUTE_PGM_RSRC2:TGID_Z_EN: 0
; COMPUTE_PGM_RSRC2:TIDIG_COMP_CNT: 0
	.section	.text._ZN5aiter22opus_moe_sorting_entryINS_30MoeSortingMultiPhaseKernel_P23INS_19MoeSortingProblemMpIifhLi16ELb0ELb1ELb1EEEEENS4_5KargsEEEvT0_,"axG",@progbits,_ZN5aiter22opus_moe_sorting_entryINS_30MoeSortingMultiPhaseKernel_P23INS_19MoeSortingProblemMpIifhLi16ELb0ELb1ELb1EEEEENS4_5KargsEEEvT0_,comdat
	.protected	_ZN5aiter22opus_moe_sorting_entryINS_30MoeSortingMultiPhaseKernel_P23INS_19MoeSortingProblemMpIifhLi16ELb0ELb1ELb1EEEEENS4_5KargsEEEvT0_ ; -- Begin function _ZN5aiter22opus_moe_sorting_entryINS_30MoeSortingMultiPhaseKernel_P23INS_19MoeSortingProblemMpIifhLi16ELb0ELb1ELb1EEEEENS4_5KargsEEEvT0_
	.globl	_ZN5aiter22opus_moe_sorting_entryINS_30MoeSortingMultiPhaseKernel_P23INS_19MoeSortingProblemMpIifhLi16ELb0ELb1ELb1EEEEENS4_5KargsEEEvT0_
	.p2align	8
	.type	_ZN5aiter22opus_moe_sorting_entryINS_30MoeSortingMultiPhaseKernel_P23INS_19MoeSortingProblemMpIifhLi16ELb0ELb1ELb1EEEEENS4_5KargsEEEvT0_,@function
_ZN5aiter22opus_moe_sorting_entryINS_30MoeSortingMultiPhaseKernel_P23INS_19MoeSortingProblemMpIifhLi16ELb0ELb1ELb1EEEEENS4_5KargsEEEvT0_: ; @_ZN5aiter22opus_moe_sorting_entryINS_30MoeSortingMultiPhaseKernel_P23INS_19MoeSortingProblemMpIifhLi16ELb0ELb1ELb1EEEEENS4_5KargsEEEvT0_
; %bb.0:
	s_clause 0x1
	s_load_b512 s[16:31], s[0:1], 0x18
	s_load_b32 s13, s[0:1], 0x64
	s_mov_b32 s3, -1
	s_waitcnt lgkmcnt(0)
	s_load_b32 s33, s[16:17], 0x0
	s_cmp_lt_i32 s15, s13
	s_cbranch_scc1 .LBB40_5
; %bb.1:
	s_load_b64 s[2:3], s[0:1], 0x84
	v_mov_b32_e32 v2, 0
	s_mov_b32 s10, exec_lo
	s_waitcnt lgkmcnt(0)
	s_ashr_i32 s4, s2, 31
	s_mul_i32 s5, s3, s33
	s_mul_hi_i32 s3, s3, s33
	s_mul_i32 s4, s5, s4
	s_mul_hi_u32 s6, s5, s2
	s_mul_i32 s3, s3, s2
	s_add_i32 s4, s6, s4
	s_mul_i32 s5, s5, s2
	s_add_i32 s4, s4, s3
	s_sub_i32 s3, s15, s13
	s_ashr_i32 s6, s4, 31
	v_lshl_add_u32 v1, s3, 8, v0
	s_lshr_b32 s2, s6, 28
	s_delay_alu instid0(SALU_CYCLE_1) | instskip(SKIP_1) | instid1(SALU_CYCLE_1)
	s_add_u32 s2, s5, s2
	s_addc_u32 s3, s4, 0
	s_ashr_i64 s[4:5], s[2:3], 4
	s_mov_b32 s3, 0
	v_cmpx_gt_i64_e64 s[4:5], v[1:2]
	s_cbranch_execz .LBB40_4
; %bb.2:
	s_load_b32 s2, s[0:1], 0x90
	v_lshlrev_b64 v[7:8], 4, v[1:2]
	v_dual_mov_b32 v6, v2 :: v_dual_mov_b32 v5, v1
	v_mov_b32_e32 v1, v2
	v_mov_b32_e32 v3, v2
	;; [unrolled: 1-line block ×3, first 2 shown]
	v_add_co_u32 v7, vcc_lo, s30, v7
	v_add_co_ci_u32_e32 v8, vcc_lo, s31, v8, vcc_lo
	s_mov_b32 s11, 0
	s_waitcnt lgkmcnt(0)
	s_sub_i32 s2, s2, s13
	s_delay_alu instid0(SALU_CYCLE_1) | instskip(NEXT) | instid1(SALU_CYCLE_1)
	s_lshl_b32 s6, s2, 8
	s_ashr_i32 s7, s6, 31
	s_delay_alu instid0(SALU_CYCLE_1)
	s_lshl_b64 s[8:9], s[6:7], 4
.LBB40_3:                               ; =>This Inner Loop Header: Depth=1
	v_add_co_u32 v5, vcc_lo, v5, s6
	v_add_co_ci_u32_e32 v6, vcc_lo, s7, v6, vcc_lo
	global_store_b128 v[7:8], v[1:4], off
	v_add_co_u32 v7, s2, v7, s8
	v_cmp_le_i64_e32 vcc_lo, s[4:5], v[5:6]
	v_add_co_ci_u32_e64 v8, s2, s9, v8, s2
	s_or_b32 s11, vcc_lo, s11
	s_delay_alu instid0(SALU_CYCLE_1)
	s_and_not1_b32 exec_lo, exec_lo, s11
	s_cbranch_execnz .LBB40_3
.LBB40_4:
	s_or_b32 exec_lo, exec_lo, s10
.LBB40_5:
	s_delay_alu instid0(SALU_CYCLE_1)
	s_and_not1_b32 vcc_lo, exec_lo, s3
	s_cbranch_vccnz .LBB40_78
; %bb.6:
	s_clause 0x1
	s_load_b64 s[16:17], s[0:1], 0x58
	s_load_b128 s[36:39], s[0:1], 0x6c
	s_lshl_b32 s2, s13, 2
	v_lshrrev_b32_e32 v7, 5, v0
	s_add_i32 s14, s2, 0
	v_and_b32_e32 v8, 31, v0
	s_addk_i32 s14, 0x50
	s_cmp_lt_i32 s13, 1
	s_mov_b32 s30, 0
	s_cbranch_scc1 .LBB40_22
; %bb.7:
	v_mbcnt_lo_u32_b32 v1, -1, 0
	s_add_i32 s9, s13, 0xff
	s_waitcnt lgkmcnt(0)
	s_add_i32 s31, s36, -1
	s_lshr_b32 s34, s9, 8
	s_cmp_lg_u64 s[16:17], 0
	v_dual_mov_b32 v11, 0 :: v_dual_lshlrev_b32 v2, 2, v1
	v_cmp_eq_u32_e64 s2, 31, v8
	v_lshl_add_u32 v6, v7, 2, 0
	v_cmp_gt_u32_e64 s3, 32, v0
	s_delay_alu instid0(VALU_DEP_4)
	v_dual_mov_b32 v5, 0 :: v_dual_and_b32 v2, 64, v2
	v_cmp_lt_u32_e64 s4, 63, v0
	v_cmp_lt_u32_e64 s5, 0x5f, v0
	;; [unrolled: 1-line block ×6, first 2 shown]
	v_dual_mov_b32 v10, 0 :: v_dual_add_nc_u32 v9, -4, v2
	v_cmp_lt_u32_e64 s10, 0xdf, v0
	v_cmp_eq_u32_e64 s11, 0xff, v0
	v_mov_b32_e32 v2, 0
	s_cselect_b32 s35, -1, 0
	s_cmp_eq_u32 s15, 0
	s_cselect_b32 s40, -1, 0
	s_add_i32 s41, s14, 4
.LBB40_8:                               ; =>This Loop Header: Depth=1
                                        ;     Child Loop BB40_19 Depth 2
	v_lshl_add_u32 v3, s30, 8, v0
	v_mov_b32_e32 v1, 0
	s_delay_alu instid0(VALU_DEP_2)
	v_cmp_gt_i32_e32 vcc_lo, s13, v3
	s_and_saveexec_b32 s42, vcc_lo
	s_cbranch_execz .LBB40_10
; %bb.9:                                ;   in Loop: Header=BB40_8 Depth=1
	v_ashrrev_i32_e32 v4, 31, v3
	s_delay_alu instid0(VALU_DEP_1) | instskip(NEXT) | instid1(VALU_DEP_1)
	v_lshlrev_b64 v[12:13], 2, v[3:4]
	v_add_co_u32 v12, s12, s20, v12
	s_delay_alu instid0(VALU_DEP_1)
	v_add_co_ci_u32_e64 v13, s12, s21, v13, s12
	global_load_b32 v1, v[12:13], off
.LBB40_10:                              ;   in Loop: Header=BB40_8 Depth=1
	s_or_b32 exec_lo, exec_lo, s42
	s_waitcnt vmcnt(0)
	v_add_nc_u32_e32 v1, s31, v1
	v_mov_b32_dpp v15, v11 row_shr:1 row_mask:0xf bank_mask:0xf bound_ctrl:1
	s_waitcnt_vscnt null, 0x0
	s_barrier
	buffer_gl0_inv
	v_mul_hi_u32 v4, v1, s37
	v_add_nc_u32_dpp v16, v15, v15 row_shr:2 row_mask:0xf bank_mask:0xf bound_ctrl:1
	s_delay_alu instid0(VALU_DEP_1) | instskip(NEXT) | instid1(VALU_DEP_3)
	v_add_nc_u32_dpp v16, v16, v16 row_shr:4 row_mask:0xf bank_mask:0xf bound_ctrl:1
	v_add_nc_u32_e32 v1, v1, v4
	s_delay_alu instid0(VALU_DEP_2) | instskip(NEXT) | instid1(VALU_DEP_2)
	v_add_nc_u32_dpp v17, v16, v16 row_shr:8 row_mask:0xf bank_mask:0xf bound_ctrl:1
	v_lshrrev_b32_e32 v12, s38, v1
	ds_bpermute_b32 v18, v9, v17
	v_mov_b32_dpp v4, v12 row_shr:1 row_mask:0xf bank_mask:0xf bound_ctrl:1
	s_delay_alu instid0(VALU_DEP_1) | instskip(NEXT) | instid1(VALU_DEP_1)
	v_add_nc_u32_e32 v1, v12, v4
	v_mov_b32_dpp v13, v1 row_shr:2 row_mask:0xf bank_mask:0xf bound_ctrl:1
	s_delay_alu instid0(VALU_DEP_1) | instskip(SKIP_2) | instid1(VALU_DEP_2)
	v_add_nc_u32_e32 v1, v1, v13
	s_waitcnt lgkmcnt(0)
	v_cndmask_b32_e64 v18, 0, v18, s9
	v_mov_b32_dpp v14, v1 row_shr:4 row_mask:0xf bank_mask:0xf bound_ctrl:1
	s_delay_alu instid0(VALU_DEP_1) | instskip(NEXT) | instid1(VALU_DEP_1)
	v_add_nc_u32_e32 v1, v1, v14
	v_mov_b32_dpp v15, v1 row_shr:8 row_mask:0xf bank_mask:0xf bound_ctrl:1
	s_delay_alu instid0(VALU_DEP_1) | instskip(SKIP_3) | instid1(VALU_DEP_1)
	v_add_nc_u32_e32 v1, v1, v15
	ds_bpermute_b32 v16, v9, v1
	s_waitcnt lgkmcnt(0)
	v_cndmask_b32_e64 v16, 0, v16, s9
	v_add_nc_u32_e32 v20, v1, v16
	v_add_nc_u32_e32 v1, v18, v17
	s_and_saveexec_b32 s12, s2
	s_cbranch_execz .LBB40_12
; %bb.11:                               ;   in Loop: Header=BB40_8 Depth=1
	ds_store_2addr_b32 v6, v20, v1 offset0:4 offset1:12
.LBB40_12:                              ;   in Loop: Header=BB40_8 Depth=1
	s_or_b32 exec_lo, exec_lo, s12
	s_waitcnt lgkmcnt(0)
	s_barrier
	buffer_gl0_inv
	ds_load_2addr_b32 v[17:18], v10 offset0:4 offset1:5
	ds_load_2addr_b32 v[21:22], v10 offset0:6 offset1:7
	;; [unrolled: 1-line block ×3, first 2 shown]
	ds_load_b32 v25, v10 offset:40
	s_waitcnt lgkmcnt(3)
	v_cndmask_b32_e64 v17, v17, 0, s3
	v_cndmask_b32_e64 v18, 0, v18, s4
	s_waitcnt lgkmcnt(2)
	v_cndmask_b32_e64 v19, 0, v21, s5
	s_waitcnt lgkmcnt(1)
	;; [unrolled: 2-line block ×3, first 2 shown]
	v_cndmask_b32_e64 v23, 0, v25, s10
	v_add3_u32 v26, v20, v5, v17
	v_cndmask_b32_e64 v20, 0, v22, s6
	v_cndmask_b32_e64 v22, 0, v24, s8
	s_delay_alu instid0(VALU_DEP_3) | instskip(NEXT) | instid1(VALU_DEP_1)
	v_add3_u32 v26, v26, v18, v19
	v_add3_u32 v24, v26, v20, v21
	s_delay_alu instid0(VALU_DEP_1)
	v_add3_u32 v24, v24, v22, v23
	s_and_saveexec_b32 s12, s11
	s_cbranch_execz .LBB40_14
; %bb.13:                               ;   in Loop: Header=BB40_8 Depth=1
	ds_load_2addr_b32 v[25:26], v10 offset0:16 offset1:17
	ds_load_b32 v31, v10 offset:72
	ds_load_2addr_b32 v[27:28], v10 offset0:14 offset1:15
	ds_load_2addr_b32 v[29:30], v10 offset0:12 offset1:13
	s_waitcnt lgkmcnt(2)
	v_add_nc_u32_e32 v26, v31, v26
	s_delay_alu instid0(VALU_DEP_1) | instskip(SKIP_1) | instid1(VALU_DEP_1)
	v_add_nc_u32_e32 v25, v26, v25
	s_waitcnt lgkmcnt(1)
	v_add_nc_u32_e32 v25, v25, v28
	s_delay_alu instid0(VALU_DEP_1) | instskip(SKIP_1) | instid1(VALU_DEP_1)
	v_add_nc_u32_e32 v25, v25, v27
	s_waitcnt lgkmcnt(0)
	v_add_nc_u32_e32 v25, v25, v30
	s_delay_alu instid0(VALU_DEP_1) | instskip(NEXT) | instid1(VALU_DEP_1)
	v_add_nc_u32_e32 v25, v25, v29
	v_add3_u32 v1, v25, v2, v1
	ds_store_2addr_b32 v10, v24, v1 offset0:2 offset1:3
.LBB40_14:                              ;   in Loop: Header=BB40_8 Depth=1
	s_or_b32 exec_lo, exec_lo, s12
	s_waitcnt lgkmcnt(0)
	s_barrier
	buffer_gl0_inv
	ds_load_2addr_b32 v[1:2], v10 offset0:2 offset1:3
	s_and_saveexec_b32 s12, vcc_lo
	s_cbranch_execz .LBB40_17
; %bb.15:                               ;   in Loop: Header=BB40_8 Depth=1
	v_sub_nc_u32_e32 v24, v24, v12
	v_lshl_add_u32 v25, v3, 2, 0
	s_and_not1_b32 vcc_lo, exec_lo, s35
	s_delay_alu instid0(VALU_DEP_2)
	v_mul_lo_u32 v24, v24, s36
	ds_store_b32 v25, v24 offset:80
	s_cbranch_vccnz .LBB40_17
; %bb.16:                               ;   in Loop: Header=BB40_8 Depth=1
	v_lshl_add_u32 v24, v3, 2, s41
	ds_store_b32 v24, v3
.LBB40_17:                              ;   in Loop: Header=BB40_8 Depth=1
	s_or_b32 exec_lo, exec_lo, s12
	v_cmp_lt_i32_e32 vcc_lo, 0, v12
	s_and_b32 s12, s40, vcc_lo
	s_delay_alu instid0(SALU_CYCLE_1)
	s_and_saveexec_b32 s42, s12
	s_cbranch_execz .LBB40_20
; %bb.18:                               ;   in Loop: Header=BB40_8 Depth=1
	v_add3_u32 v16, v16, v18, v19
	s_mov_b32 s43, 0
	s_delay_alu instid0(VALU_DEP_1) | instskip(NEXT) | instid1(VALU_DEP_1)
	v_add3_u32 v16, v16, v20, v21
	v_add3_u32 v16, v16, v22, v23
	s_delay_alu instid0(VALU_DEP_1) | instskip(NEXT) | instid1(VALU_DEP_1)
	v_add3_u32 v4, v16, v17, v4
	v_add3_u32 v4, v4, v13, v14
	s_delay_alu instid0(VALU_DEP_1)
	v_add3_u32 v4, v4, v15, v5
.LBB40_19:                              ;   Parent Loop BB40_8 Depth=1
                                        ; =>  This Inner Loop Header: Depth=2
	s_delay_alu instid0(VALU_DEP_1) | instskip(SKIP_1) | instid1(VALU_DEP_2)
	v_ashrrev_i32_e32 v5, 31, v4
	v_add_nc_u32_e32 v12, -1, v12
	v_lshlrev_b64 v[13:14], 2, v[4:5]
	s_delay_alu instid0(VALU_DEP_2) | instskip(SKIP_2) | instid1(VALU_DEP_3)
	v_cmp_eq_u32_e32 vcc_lo, 0, v12
	v_add_nc_u32_e32 v4, 1, v4
	s_or_b32 s43, vcc_lo, s43
	v_add_co_u32 v13, s12, s24, v13
	s_delay_alu instid0(VALU_DEP_1)
	v_add_co_ci_u32_e64 v14, s12, s25, v14, s12
	global_store_b32 v[13:14], v3, off
	s_and_not1_b32 exec_lo, exec_lo, s43
	s_cbranch_execnz .LBB40_19
.LBB40_20:                              ;   in Loop: Header=BB40_8 Depth=1
	s_or_b32 exec_lo, exec_lo, s42
	s_add_i32 s30, s30, 1
	s_delay_alu instid0(SALU_CYCLE_1)
	s_cmp_eq_u32 s30, s34
	s_cbranch_scc1 .LBB40_23
; %bb.21:                               ;   in Loop: Header=BB40_8 Depth=1
	s_waitcnt lgkmcnt(0)
	v_mov_b32_e32 v5, v1
	s_branch .LBB40_8
.LBB40_22:
	v_mov_b32_e32 v1, 0
.LBB40_23:
	s_load_b128 s[40:43], s[0:1], 0x0
	s_mov_b32 s0, exec_lo
	v_cmpx_eq_u32_e32 0, v0
	s_cbranch_execz .LBB40_27
; %bb.24:
	s_waitcnt lgkmcnt(0)
	v_mul_lo_u32 v1, v1, s36
	s_cmp_lg_u32 s15, 0
	s_cbranch_scc1 .LBB40_26
; %bb.25:
	v_dual_mov_b32 v3, 0 :: v_dual_mov_b32 v2, s33
	global_store_b64 v3, v[1:2], s[22:23]
.LBB40_26:
	v_mov_b32_e32 v2, s14
	ds_store_b32 v2, v1
.LBB40_27:
	s_or_b32 exec_lo, exec_lo, s0
	s_waitcnt lgkmcnt(0)
	s_cmp_eq_u64 s[16:17], 0
	s_waitcnt_vscnt null, 0x0
	s_cselect_b32 s0, -1, 0
	s_cmp_lg_u32 s15, 0
	s_barrier
	s_cselect_b32 s1, -1, 0
	buffer_gl0_inv
	s_or_b32 s0, s1, s0
	s_delay_alu instid0(SALU_CYCLE_1)
	s_and_b32 vcc_lo, exec_lo, s0
	s_cbranch_vccnz .LBB40_32
; %bb.28:
	s_mul_i32 s1, s33, s39
	s_mov_b32 s2, exec_lo
	v_cmpx_gt_i32_e64 s1, v0
	s_cbranch_execz .LBB40_31
; %bb.29:
	v_lshlrev_b32_e32 v3, 2, v0
	v_mov_b32_e32 v5, v0
	s_mov_b32 s3, 0
	s_delay_alu instid0(VALU_DEP_2) | instskip(NEXT) | instid1(VALU_DEP_1)
	v_add_co_u32 v1, s0, s40, v3
	v_add_co_ci_u32_e64 v2, null, s41, 0, s0
	v_add_co_u32 v3, s0, s16, v3
	s_delay_alu instid0(VALU_DEP_1)
	v_add_co_ci_u32_e64 v4, null, s17, 0, s0
	.p2align	6
.LBB40_30:                              ; =>This Inner Loop Header: Depth=1
	global_load_b32 v6, v[1:2], off
	v_add_nc_u32_e32 v5, 0x100, v5
	v_add_co_u32 v1, vcc_lo, 0x400, v1
	v_add_co_ci_u32_e32 v2, vcc_lo, 0, v2, vcc_lo
	s_delay_alu instid0(VALU_DEP_3) | instskip(SKIP_4) | instid1(VALU_DEP_1)
	v_cmp_le_i32_e32 vcc_lo, s1, v5
	s_or_b32 s3, vcc_lo, s3
	s_waitcnt vmcnt(0)
	v_max_i32_e32 v9, -1, v6
	v_cmp_gt_i32_e64 s0, s13, v6
	v_cndmask_b32_e64 v6, -1, v9, s0
	global_store_b32 v[3:4], v6, off
	v_add_co_u32 v3, s0, 0x400, v3
	s_delay_alu instid0(VALU_DEP_1)
	v_add_co_ci_u32_e64 v4, s0, 0, v4, s0
	s_and_not1_b32 exec_lo, exec_lo, s3
	s_cbranch_execnz .LBB40_30
.LBB40_31:
	s_or_b32 exec_lo, exec_lo, s2
.LBB40_32:
	s_lshl_b32 s0, s15, 2
	s_delay_alu instid0(SALU_CYCLE_1) | instskip(NEXT) | instid1(SALU_CYCLE_1)
	s_add_i32 s0, s0, 0
	v_mov_b32_e32 v1, s0
	ds_load_2addr_b32 v[5:6], v1 offset0:20 offset1:21
	s_waitcnt lgkmcnt(0)
	v_cmp_eq_u32_e32 vcc_lo, v5, v6
	s_cbranch_vccnz .LBB40_78
; %bb.33:
	s_cmp_lt_i32 s33, 1
	s_cbranch_scc1 .LBB40_74
; %bb.34:
	v_mbcnt_lo_u32_b32 v1, -1, 0
	v_lshlrev_b32_e32 v29, 4, v0
	s_add_i32 s0, s33, 31
	s_add_i32 s1, s33, 15
	s_lshr_b32 s0, s0, 5
	v_dual_mov_b32 v9, 0 :: v_dual_lshlrev_b32 v2, 2, v1
	s_lshr_b32 s34, s1, 4
	s_lshl_b32 s1, s0, 1
	s_mul_i32 s15, s15, s0
	s_delay_alu instid0(VALU_DEP_1) | instskip(SKIP_3) | instid1(VALU_DEP_3)
	v_dual_mov_b32 v33, 0 :: v_dual_and_b32 v2, 64, v2
	v_cmp_lt_u32_e32 vcc_lo, 15, v1
	v_or_b32_e32 v1, 15, v29
	s_addk_i32 s1, 0xff
	v_dual_mov_b32 v32, v0 :: v_dual_add_nc_u32 v27, -4, v2
	v_or_b32_e32 v2, 14, v29
	s_lshl_b32 s0, s15, 5
	s_lshr_b32 s35, s1, 8
	s_ashr_i32 s1, s0, 31
	s_add_u32 s36, s18, s0
	v_cmp_eq_u32_e64 s0, 31, v8
	v_lshl_add_u32 v28, v7, 2, 0
	v_mad_u64_u32 v[7:8], null, s39, v1, -1
	v_or_b32_e32 v1, 13, v29
	v_mad_u64_u32 v[10:11], null, s39, v2, -1
	v_or_b32_e32 v2, 12, v29
	v_or_b32_e32 v3, 5, v29
	s_delay_alu instid0(VALU_DEP_4) | instskip(SKIP_1) | instid1(VALU_DEP_4)
	v_mad_u64_u32 v[11:12], null, s39, v1, -1
	v_or_b32_e32 v1, 11, v29
	v_mad_u64_u32 v[12:13], null, s39, v2, -1
	v_or_b32_e32 v2, 10, v29
	v_mul_lo_u32 v4, s39, v29
	s_delay_alu instid0(VALU_DEP_4) | instskip(SKIP_1) | instid1(VALU_DEP_4)
	v_mad_u64_u32 v[13:14], null, s39, v1, -1
	v_or_b32_e32 v1, 9, v29
	v_mad_u64_u32 v[14:15], null, s39, v2, -1
	v_or_b32_e32 v2, 8, v29
	v_mul_lo_u32 v8, v0, s39
	s_delay_alu instid0(VALU_DEP_4) | instskip(SKIP_1) | instid1(VALU_DEP_4)
	v_mad_u64_u32 v[15:16], null, s39, v1, -1
	v_or_b32_e32 v1, 7, v29
	v_mad_u64_u32 v[16:17], null, s39, v2, -1
	v_or_b32_e32 v2, 6, v29
	s_addc_u32 s37, s19, s1
	s_delay_alu instid0(VALU_DEP_3) | instskip(SKIP_1) | instid1(VALU_DEP_3)
	v_mad_u64_u32 v[17:18], null, s39, v1, -1
	v_or_b32_e32 v1, 4, v29
	v_mad_u64_u32 v[18:19], null, s39, v2, -1
	v_or_b32_e32 v2, 3, v29
	;; [unrolled: 2-line block ×3, first 2 shown]
	v_mad_u64_u32 v[20:21], null, s39, v1, -1
	s_delay_alu instid0(VALU_DEP_4) | instskip(NEXT) | instid1(VALU_DEP_3)
	v_mad_u64_u32 v[21:22], null, s39, v2, -1
	v_mad_u64_u32 v[22:23], null, s39, v3, -1
	v_cmp_gt_u32_e64 s1, 32, v0
	v_cmp_lt_u32_e64 s2, 63, v0
	v_cmp_lt_u32_e64 s3, 0x5f, v0
	;; [unrolled: 1-line block ×6, first 2 shown]
	v_cmp_eq_u32_e64 s8, 0xff, v0
	v_add3_u32 v30, v4, s39, -1
	v_lshl_add_u32 v31, v8, 4, -1
	s_mov_b32 s38, 0
	s_lshl_b32 s40, s39, 12
	s_mov_b64 s[30:31], 0
	s_branch .LBB40_36
.LBB40_35:                              ;   in Loop: Header=BB40_36 Depth=1
	s_or_b32 exec_lo, exec_lo, s10
	s_add_i32 s38, s38, s40
	s_add_u32 s30, s30, 0x1000
	s_addc_u32 s31, s31, 0
	s_add_i32 s35, s35, -1
	v_add_nc_u32_e32 v32, 0x100, v32
	s_add_u32 s36, s36, 0x1000
	s_addc_u32 s37, s37, 0
	s_cmp_eq_u32 s35, 0
	s_cbranch_scc1 .LBB40_75
.LBB40_36:                              ; =>This Inner Loop Header: Depth=1
	v_dual_mov_b32 v1, 0 :: v_dual_mov_b32 v2, 0
	v_dual_mov_b32 v3, 0 :: v_dual_mov_b32 v4, 0
	s_mov_b32 s10, exec_lo
	v_cmpx_gt_u32_e64 s34, v32
	s_cbranch_execz .LBB40_38
; %bb.37:                               ;   in Loop: Header=BB40_36 Depth=1
	v_add_co_u32 v1, s9, s36, v29
	s_delay_alu instid0(VALU_DEP_1)
	v_add_co_ci_u32_e64 v2, null, s37, 0, s9
	global_load_b128 v[1:4], v[1:2], off
.LBB40_38:                              ;   in Loop: Header=BB40_36 Depth=1
	s_or_b32 exec_lo, exec_lo, s10
	s_waitcnt vmcnt(0)
	v_lshrrev_b32_e32 v53, 8, v1
	v_lshrrev_b32_e32 v51, 16, v1
	v_lshrrev_b64 v[25:26], 24, v[1:2]
	v_and_b32_e32 v8, 0xff, v1
	v_lshrrev_b32_e32 v44, 16, v2
	v_and_b32_e32 v54, 0xff, v53
	v_and_b32_e32 v52, 0xff, v51
	v_lshrrev_b32_e32 v47, 8, v2
	v_and_b32_e32 v50, 0xff, v25
	v_cmp_ne_u16_e64 s24, 0, v8
	v_cmp_ne_u16_e64 s23, 0, v54
	v_cmp_ne_u16_e64 s22, 0, v52
	v_and_b32_e32 v49, 0xff, v2
	v_and_b32_e32 v48, 0xff, v47
	v_cmp_ne_u16_e64 s21, 0, v50
	v_cndmask_b32_e64 v23, 0, 1, s23
	v_cndmask_b32_e64 v24, 0, 1, s22
	v_cmp_ne_u16_e64 s20, 0, v49
	v_and_b32_e32 v46, 0xff, v44
	v_cmp_ne_u16_e64 s19, 0, v48
	v_add_co_ci_u32_e64 v23, s9, 0, v23, s24
	v_lshrrev_b32_e32 v45, 24, v2
	s_delay_alu instid0(VALU_DEP_4) | instskip(SKIP_1) | instid1(VALU_DEP_4)
	v_cmp_ne_u16_e64 s18, 0, v46
	v_lshrrev_b32_e32 v41, 8, v3
	v_add_co_ci_u32_e64 v23, s9, v23, v24, s21
	v_cndmask_b32_e64 v24, 0, 1, s20
	v_cmp_ne_u16_e64 s17, 0, v45
	v_and_b32_e32 v43, 0xff, v3
	v_lshrrev_b32_e32 v39, 16, v3
	v_and_b32_e32 v42, 0xff, v41
	v_add_co_ci_u32_e64 v23, s9, v23, v24, s19
	v_cndmask_b32_e64 v24, 0, 1, s18
	v_cmp_ne_u16_e64 s16, 0, v43
	v_and_b32_e32 v40, 0xff, v39
	v_cmp_ne_u16_e64 s15, 0, v42
	v_lshrrev_b32_e32 v35, 8, v4
	v_add_co_ci_u32_e64 v26, s9, v23, v24, s17
	v_lshrrev_b64 v[23:24], 24, v[3:4]
	v_cndmask_b32_e64 v34, 0, 1, s16
	v_cmp_ne_u16_e64 s14, 0, v40
	v_and_b32_e32 v37, 0xff, v4
	v_lshrrev_b32_e32 v24, 16, v4
	v_and_b32_e32 v36, 0xff, v35
	v_and_b32_e32 v38, 0xff, v23
	v_add_co_ci_u32_e64 v26, s9, v26, v34, s15
	v_cndmask_b32_e64 v34, 0, 1, s14
	v_cmp_ne_u16_e64 s12, 0, v37
	s_delay_alu instid0(VALU_DEP_4)
	v_cmp_ne_u16_e64 s13, 0, v38
	v_cmp_ne_u16_e64 s11, 0, v36
	s_waitcnt_vscnt null, 0x0
	s_waitcnt lgkmcnt(0)
	s_barrier
	v_cndmask_b32_e64 v55, 0, 1, s12
	v_add_co_ci_u32_e64 v26, s9, v26, v34, s13
	v_and_b32_e32 v34, 0xff, v24
	buffer_gl0_inv
	v_add_co_ci_u32_e64 v55, s9, v26, v55, s11
	v_lshrrev_b32_e32 v26, 24, v4
	v_cmp_ne_u16_e64 s10, 0, v34
	s_delay_alu instid0(VALU_DEP_2) | instskip(NEXT) | instid1(VALU_DEP_2)
	v_cmp_ne_u16_e64 s9, 0, v26
	v_cndmask_b32_e64 v56, 0, 1, s10
	s_delay_alu instid0(VALU_DEP_1) | instskip(NEXT) | instid1(VALU_DEP_1)
	v_add_co_ci_u32_e64 v55, s25, v55, v56, s9
	v_add_nc_u32_dpp v56, v55, v55 row_shr:1 row_mask:0xf bank_mask:0xf bound_ctrl:1
	s_delay_alu instid0(VALU_DEP_1) | instskip(NEXT) | instid1(VALU_DEP_1)
	v_add_nc_u32_dpp v56, v56, v56 row_shr:2 row_mask:0xf bank_mask:0xf bound_ctrl:1
	v_add_nc_u32_dpp v56, v56, v56 row_shr:4 row_mask:0xf bank_mask:0xf bound_ctrl:1
	s_delay_alu instid0(VALU_DEP_1) | instskip(SKIP_3) | instid1(VALU_DEP_1)
	v_add_nc_u32_dpp v56, v56, v56 row_shr:8 row_mask:0xf bank_mask:0xf bound_ctrl:1
	ds_bpermute_b32 v57, v27, v56
	s_waitcnt lgkmcnt(0)
	v_cndmask_b32_e32 v57, 0, v57, vcc_lo
	v_add_nc_u32_e32 v56, v56, v57
	s_and_saveexec_b32 s25, s0
	s_cbranch_execz .LBB40_40
; %bb.39:                               ;   in Loop: Header=BB40_36 Depth=1
	ds_store_b32 v28, v56 offset:16
.LBB40_40:                              ;   in Loop: Header=BB40_36 Depth=1
	s_or_b32 exec_lo, exec_lo, s25
	s_waitcnt lgkmcnt(0)
	s_barrier
	buffer_gl0_inv
	ds_load_2addr_b32 v[57:58], v9 offset0:4 offset1:5
	ds_load_2addr_b32 v[59:60], v9 offset0:6 offset1:7
	;; [unrolled: 1-line block ×3, first 2 shown]
	ds_load_b32 v63, v9 offset:40
	s_waitcnt lgkmcnt(3)
	v_cndmask_b32_e64 v57, v57, 0, s1
	v_cndmask_b32_e64 v58, 0, v58, s2
	s_waitcnt lgkmcnt(2)
	v_cndmask_b32_e64 v59, 0, v59, s3
	s_delay_alu instid0(VALU_DEP_3) | instskip(SKIP_3) | instid1(VALU_DEP_3)
	v_add3_u32 v33, v56, v33, v57
	v_cndmask_b32_e64 v56, 0, v60, s4
	s_waitcnt lgkmcnt(1)
	v_cndmask_b32_e64 v57, 0, v61, s5
	v_add3_u32 v33, v33, v58, v59
	v_cndmask_b32_e64 v58, 0, v62, s6
	s_waitcnt lgkmcnt(0)
	v_cndmask_b32_e64 v59, 0, v63, s7
	s_delay_alu instid0(VALU_DEP_3) | instskip(NEXT) | instid1(VALU_DEP_1)
	v_add3_u32 v33, v33, v56, v57
	v_add3_u32 v56, v33, v58, v59
	s_and_saveexec_b32 s25, s8
	s_cbranch_execz .LBB40_42
; %bb.41:                               ;   in Loop: Header=BB40_36 Depth=1
	ds_store_b32 v9, v56
.LBB40_42:                              ;   in Loop: Header=BB40_36 Depth=1
	s_or_b32 exec_lo, exec_lo, s25
	s_waitcnt lgkmcnt(0)
	s_barrier
	buffer_gl0_inv
	ds_load_b32 v33, v9
	v_sub_nc_u32_e32 v56, v56, v55
	v_mov_b32_e32 v55, 0
	v_mov_b32_e32 v57, 0
	s_and_saveexec_b32 s25, s24
	s_cbranch_execz .LBB40_44
; %bb.43:                               ;   in Loop: Header=BB40_36 Depth=1
	v_add3_u32 v8, v31, s38, v8
	s_delay_alu instid0(VALU_DEP_1) | instskip(NEXT) | instid1(VALU_DEP_1)
	v_lshlrev_b64 v[57:58], 2, v[8:9]
	v_add_co_u32 v57, s24, s42, v57
	s_delay_alu instid0(VALU_DEP_1) | instskip(SKIP_3) | instid1(VALU_DEP_2)
	v_add_co_ci_u32_e64 v58, s24, s43, v58, s24
	global_load_b32 v8, v[57:58], off
	v_add_nc_u32_e32 v58, s30, v29
	v_add_nc_u32_e32 v57, v56, v5
	v_and_b32_e32 v59, 0xfffff0, v58
	s_delay_alu instid0(VALU_DEP_2) | instskip(NEXT) | instid1(VALU_DEP_2)
	v_ashrrev_i32_e32 v58, 31, v57
	v_lshl_or_b32 v1, v1, 24, v59
	s_delay_alu instid0(VALU_DEP_2) | instskip(NEXT) | instid1(VALU_DEP_2)
	v_lshlrev_b64 v[57:58], 2, v[57:58]
	v_add_nc_u32_e32 v1, 0xff000000, v1
	s_delay_alu instid0(VALU_DEP_2) | instskip(NEXT) | instid1(VALU_DEP_1)
	v_add_co_u32 v59, s24, s26, v57
	v_add_co_ci_u32_e64 v60, s24, s27, v58, s24
	v_add_co_u32 v61, s24, s28, v57
	v_mov_b32_e32 v57, 1
	v_add_co_ci_u32_e64 v62, s24, s29, v58, s24
	global_store_b32 v[59:60], v1, off
	s_waitcnt vmcnt(0)
	global_store_b32 v[61:62], v8, off
.LBB40_44:                              ;   in Loop: Header=BB40_36 Depth=1
	s_or_b32 exec_lo, exec_lo, s25
	s_delay_alu instid0(VALU_DEP_1)
	v_add_nc_u32_e32 v1, v57, v56
	s_and_saveexec_b32 s24, s23
	s_cbranch_execz .LBB40_46
; %bb.45:                               ;   in Loop: Header=BB40_36 Depth=1
	v_add3_u32 v8, v30, s38, v54
	s_delay_alu instid0(VALU_DEP_1) | instskip(NEXT) | instid1(VALU_DEP_1)
	v_lshlrev_b64 v[54:55], 2, v[8:9]
	v_add_co_u32 v54, s23, s42, v54
	s_delay_alu instid0(VALU_DEP_1) | instskip(SKIP_3) | instid1(VALU_DEP_2)
	v_add_co_ci_u32_e64 v55, s23, s43, v55, s23
	global_load_b32 v8, v[54:55], off
	v_add3_u32 v55, v29, s30, 1
	v_add_nc_u32_e32 v54, v1, v5
	v_and_b32_e32 v56, 0xfffff1, v55
	s_delay_alu instid0(VALU_DEP_2) | instskip(NEXT) | instid1(VALU_DEP_2)
	v_ashrrev_i32_e32 v55, 31, v54
	v_lshl_or_b32 v56, v53, 24, v56
	s_delay_alu instid0(VALU_DEP_2) | instskip(NEXT) | instid1(VALU_DEP_2)
	v_lshlrev_b64 v[53:54], 2, v[54:55]
	v_dual_mov_b32 v55, 1 :: v_dual_add_nc_u32 v58, 0xff000000, v56
	s_delay_alu instid0(VALU_DEP_2) | instskip(NEXT) | instid1(VALU_DEP_1)
	v_add_co_u32 v56, s23, s26, v53
	v_add_co_ci_u32_e64 v57, s23, s27, v54, s23
	v_add_co_u32 v53, s23, s28, v53
	s_delay_alu instid0(VALU_DEP_1)
	v_add_co_ci_u32_e64 v54, s23, s29, v54, s23
	global_store_b32 v[56:57], v58, off
	s_waitcnt vmcnt(0)
	global_store_b32 v[53:54], v8, off
.LBB40_46:                              ;   in Loop: Header=BB40_36 Depth=1
	s_or_b32 exec_lo, exec_lo, s24
	s_delay_alu instid0(VALU_DEP_1)
	v_dual_mov_b32 v8, 0 :: v_dual_add_nc_u32 v53, v55, v1
	v_mov_b32_e32 v1, 0
	s_and_saveexec_b32 s23, s22
	s_cbranch_execz .LBB40_48
; %bb.47:                               ;   in Loop: Header=BB40_36 Depth=1
	v_add3_u32 v8, v22, s38, v52
	s_delay_alu instid0(VALU_DEP_1) | instskip(SKIP_1) | instid1(VALU_DEP_1)
	v_lshlrev_b64 v[54:55], 2, v[8:9]
	v_add3_u32 v8, v29, s30, 2
	v_and_b32_e32 v8, 0xfffff2, v8
	s_delay_alu instid0(VALU_DEP_3) | instskip(NEXT) | instid1(VALU_DEP_1)
	v_add_co_u32 v54, s22, s42, v54
	v_add_co_ci_u32_e64 v55, s22, s43, v55, s22
	s_delay_alu instid0(VALU_DEP_3) | instskip(SKIP_3) | instid1(VALU_DEP_2)
	v_lshl_or_b32 v8, v51, 24, v8
	global_load_b32 v56, v[54:55], off
	v_add_nc_u32_e32 v54, v53, v5
	v_dual_mov_b32 v8, 1 :: v_dual_add_nc_u32 v57, 0xff000000, v8
	v_ashrrev_i32_e32 v55, 31, v54
	s_delay_alu instid0(VALU_DEP_1) | instskip(NEXT) | instid1(VALU_DEP_1)
	v_lshlrev_b64 v[51:52], 2, v[54:55]
	v_add_co_u32 v54, s22, s26, v51
	s_delay_alu instid0(VALU_DEP_1) | instskip(SKIP_1) | instid1(VALU_DEP_1)
	v_add_co_ci_u32_e64 v55, s22, s27, v52, s22
	v_add_co_u32 v51, s22, s28, v51
	v_add_co_ci_u32_e64 v52, s22, s29, v52, s22
	global_store_b32 v[54:55], v57, off
	s_waitcnt vmcnt(0)
	global_store_b32 v[51:52], v56, off
.LBB40_48:                              ;   in Loop: Header=BB40_36 Depth=1
	s_or_b32 exec_lo, exec_lo, s23
	v_add_nc_u32_e32 v51, v8, v53
	s_and_saveexec_b32 s22, s21
	s_cbranch_execz .LBB40_50
; %bb.49:                               ;   in Loop: Header=BB40_36 Depth=1
	v_add3_u32 v8, v21, s38, v50
	v_add3_u32 v1, v29, s30, 3
	s_delay_alu instid0(VALU_DEP_2) | instskip(NEXT) | instid1(VALU_DEP_2)
	v_lshlrev_b64 v[52:53], 2, v[8:9]
	v_and_b32_e32 v1, 0xfffff3, v1
	s_delay_alu instid0(VALU_DEP_1) | instskip(NEXT) | instid1(VALU_DEP_3)
	v_lshl_or_b32 v1, v25, 24, v1
	v_add_co_u32 v52, s21, s42, v52
	s_delay_alu instid0(VALU_DEP_1) | instskip(NEXT) | instid1(VALU_DEP_3)
	v_add_co_ci_u32_e64 v53, s21, s43, v53, s21
	v_add_nc_u32_e32 v25, 0xff000000, v1
	v_mov_b32_e32 v1, 1
	global_load_b32 v8, v[52:53], off
	v_add_nc_u32_e32 v52, v51, v5
	s_delay_alu instid0(VALU_DEP_1) | instskip(NEXT) | instid1(VALU_DEP_1)
	v_ashrrev_i32_e32 v53, 31, v52
	v_lshlrev_b64 v[52:53], 2, v[52:53]
	s_delay_alu instid0(VALU_DEP_1) | instskip(NEXT) | instid1(VALU_DEP_1)
	v_add_co_u32 v54, s21, s26, v52
	v_add_co_ci_u32_e64 v55, s21, s27, v53, s21
	v_add_co_u32 v52, s21, s28, v52
	s_delay_alu instid0(VALU_DEP_1)
	v_add_co_ci_u32_e64 v53, s21, s29, v53, s21
	global_store_b32 v[54:55], v25, off
	s_waitcnt vmcnt(0)
	global_store_b32 v[52:53], v8, off
.LBB40_50:                              ;   in Loop: Header=BB40_36 Depth=1
	s_or_b32 exec_lo, exec_lo, s22
	s_delay_alu instid0(VALU_DEP_1)
	v_dual_mov_b32 v8, 0 :: v_dual_add_nc_u32 v25, v1, v51
	v_mov_b32_e32 v1, 0
	s_and_saveexec_b32 s21, s20
	s_cbranch_execz .LBB40_52
; %bb.51:                               ;   in Loop: Header=BB40_36 Depth=1
	v_add3_u32 v8, v20, s38, v49
	s_delay_alu instid0(VALU_DEP_1) | instskip(SKIP_1) | instid1(VALU_DEP_1)
	v_lshlrev_b64 v[49:50], 2, v[8:9]
	v_add3_u32 v8, v29, s30, 4
	v_and_b32_e32 v8, 0xfffff4, v8
	s_delay_alu instid0(VALU_DEP_3) | instskip(NEXT) | instid1(VALU_DEP_1)
	v_add_co_u32 v49, s20, s42, v49
	v_add_co_ci_u32_e64 v50, s20, s43, v50, s20
	s_delay_alu instid0(VALU_DEP_3) | instskip(SKIP_4) | instid1(VALU_DEP_2)
	v_lshl_or_b32 v2, v2, 24, v8
	v_mov_b32_e32 v8, 1
	global_load_b32 v53, v[49:50], off
	v_add_nc_u32_e32 v49, v25, v5
	v_add_nc_u32_e32 v2, 0xff000000, v2
	v_ashrrev_i32_e32 v50, 31, v49
	s_delay_alu instid0(VALU_DEP_1) | instskip(NEXT) | instid1(VALU_DEP_1)
	v_lshlrev_b64 v[49:50], 2, v[49:50]
	v_add_co_u32 v51, s20, s26, v49
	s_delay_alu instid0(VALU_DEP_1) | instskip(SKIP_1) | instid1(VALU_DEP_1)
	v_add_co_ci_u32_e64 v52, s20, s27, v50, s20
	v_add_co_u32 v49, s20, s28, v49
	v_add_co_ci_u32_e64 v50, s20, s29, v50, s20
	global_store_b32 v[51:52], v2, off
	s_waitcnt vmcnt(0)
	global_store_b32 v[49:50], v53, off
.LBB40_52:                              ;   in Loop: Header=BB40_36 Depth=1
	s_or_b32 exec_lo, exec_lo, s21
	v_add_nc_u32_e32 v2, v8, v25
	s_and_saveexec_b32 s20, s19
	s_cbranch_execz .LBB40_54
; %bb.53:                               ;   in Loop: Header=BB40_36 Depth=1
	v_add3_u32 v8, v19, s38, v48
	v_add3_u32 v1, v29, s30, 5
	s_delay_alu instid0(VALU_DEP_2) | instskip(NEXT) | instid1(VALU_DEP_2)
	v_lshlrev_b64 v[48:49], 2, v[8:9]
	v_and_b32_e32 v1, 0xfffff5, v1
	s_delay_alu instid0(VALU_DEP_1) | instskip(NEXT) | instid1(VALU_DEP_3)
	v_lshl_or_b32 v1, v47, 24, v1
	v_add_co_u32 v48, s19, s42, v48
	s_delay_alu instid0(VALU_DEP_1) | instskip(NEXT) | instid1(VALU_DEP_3)
	v_add_co_ci_u32_e64 v49, s19, s43, v49, s19
	v_add_nc_u32_e32 v25, 0xff000000, v1
	v_mov_b32_e32 v1, 1
	global_load_b32 v8, v[48:49], off
	v_add_nc_u32_e32 v48, v2, v5
	s_delay_alu instid0(VALU_DEP_1) | instskip(NEXT) | instid1(VALU_DEP_1)
	v_ashrrev_i32_e32 v49, 31, v48
	v_lshlrev_b64 v[47:48], 2, v[48:49]
	s_delay_alu instid0(VALU_DEP_1) | instskip(NEXT) | instid1(VALU_DEP_1)
	v_add_co_u32 v49, s19, s26, v47
	v_add_co_ci_u32_e64 v50, s19, s27, v48, s19
	v_add_co_u32 v47, s19, s28, v47
	s_delay_alu instid0(VALU_DEP_1)
	v_add_co_ci_u32_e64 v48, s19, s29, v48, s19
	global_store_b32 v[49:50], v25, off
	s_waitcnt vmcnt(0)
	global_store_b32 v[47:48], v8, off
.LBB40_54:                              ;   in Loop: Header=BB40_36 Depth=1
	s_or_b32 exec_lo, exec_lo, s20
	s_delay_alu instid0(VALU_DEP_1)
	v_dual_mov_b32 v1, 0 :: v_dual_add_nc_u32 v2, v1, v2
	v_mov_b32_e32 v8, 0
	s_and_saveexec_b32 s19, s18
	s_cbranch_execz .LBB40_56
; %bb.55:                               ;   in Loop: Header=BB40_36 Depth=1
	v_add3_u32 v8, v18, s38, v46
	s_delay_alu instid0(VALU_DEP_1) | instskip(SKIP_1) | instid1(VALU_DEP_1)
	v_lshlrev_b64 v[46:47], 2, v[8:9]
	v_add3_u32 v8, v29, s30, 6
	v_and_b32_e32 v8, 0xfffff6, v8
	s_delay_alu instid0(VALU_DEP_3) | instskip(NEXT) | instid1(VALU_DEP_1)
	v_add_co_u32 v46, s18, s42, v46
	v_add_co_ci_u32_e64 v47, s18, s43, v47, s18
	s_delay_alu instid0(VALU_DEP_3) | instskip(SKIP_4) | instid1(VALU_DEP_3)
	v_lshl_or_b32 v8, v44, 24, v8
	global_load_b32 v25, v[46:47], off
	v_add_nc_u32_e32 v46, v2, v5
	v_add_nc_u32_e32 v44, 0xff000000, v8
	v_mov_b32_e32 v8, 1
	v_ashrrev_i32_e32 v47, 31, v46
	s_delay_alu instid0(VALU_DEP_1) | instskip(NEXT) | instid1(VALU_DEP_1)
	v_lshlrev_b64 v[46:47], 2, v[46:47]
	v_add_co_u32 v48, s18, s26, v46
	s_delay_alu instid0(VALU_DEP_1) | instskip(SKIP_1) | instid1(VALU_DEP_1)
	v_add_co_ci_u32_e64 v49, s18, s27, v47, s18
	v_add_co_u32 v46, s18, s28, v46
	v_add_co_ci_u32_e64 v47, s18, s29, v47, s18
	global_store_b32 v[48:49], v44, off
	s_waitcnt vmcnt(0)
	global_store_b32 v[46:47], v25, off
.LBB40_56:                              ;   in Loop: Header=BB40_36 Depth=1
	s_or_b32 exec_lo, exec_lo, s19
	s_delay_alu instid0(VALU_DEP_1)
	v_add_nc_u32_e32 v2, v8, v2
	s_and_saveexec_b32 s18, s17
	s_cbranch_execz .LBB40_58
; %bb.57:                               ;   in Loop: Header=BB40_36 Depth=1
	v_and_b32_e32 v1, 0xffff, v45
	v_add3_u32 v25, v29, s30, 7
	s_delay_alu instid0(VALU_DEP_2) | instskip(NEXT) | instid1(VALU_DEP_2)
	v_add3_u32 v8, v17, s38, v1
	v_and_b32_e32 v25, 0xfffff7, v25
	s_delay_alu instid0(VALU_DEP_2) | instskip(NEXT) | instid1(VALU_DEP_2)
	v_lshlrev_b64 v[44:45], 2, v[8:9]
	v_lshl_or_b32 v1, v1, 24, v25
	s_delay_alu instid0(VALU_DEP_1) | instskip(NEXT) | instid1(VALU_DEP_3)
	v_add_nc_u32_e32 v25, 0xff000000, v1
	v_add_co_u32 v44, s17, s42, v44
	s_delay_alu instid0(VALU_DEP_1) | instskip(SKIP_3) | instid1(VALU_DEP_1)
	v_add_co_ci_u32_e64 v45, s17, s43, v45, s17
	v_mov_b32_e32 v1, 1
	global_load_b32 v8, v[44:45], off
	v_add_nc_u32_e32 v44, v2, v5
	v_ashrrev_i32_e32 v45, 31, v44
	s_delay_alu instid0(VALU_DEP_1) | instskip(NEXT) | instid1(VALU_DEP_1)
	v_lshlrev_b64 v[44:45], 2, v[44:45]
	v_add_co_u32 v46, s17, s26, v44
	s_delay_alu instid0(VALU_DEP_1) | instskip(SKIP_1) | instid1(VALU_DEP_1)
	v_add_co_ci_u32_e64 v47, s17, s27, v45, s17
	v_add_co_u32 v44, s17, s28, v44
	v_add_co_ci_u32_e64 v45, s17, s29, v45, s17
	global_store_b32 v[46:47], v25, off
	s_waitcnt vmcnt(0)
	global_store_b32 v[44:45], v8, off
.LBB40_58:                              ;   in Loop: Header=BB40_36 Depth=1
	s_or_b32 exec_lo, exec_lo, s18
	s_delay_alu instid0(VALU_DEP_1)
	v_dual_mov_b32 v1, 0 :: v_dual_add_nc_u32 v2, v1, v2
	v_mov_b32_e32 v8, 0
	s_and_saveexec_b32 s17, s16
	s_cbranch_execz .LBB40_60
; %bb.59:                               ;   in Loop: Header=BB40_36 Depth=1
	v_add3_u32 v8, v16, s38, v43
	s_delay_alu instid0(VALU_DEP_1) | instskip(SKIP_1) | instid1(VALU_DEP_1)
	v_lshlrev_b64 v[43:44], 2, v[8:9]
	v_add3_u32 v8, v29, s30, 8
	v_and_b32_e32 v8, 0xfffff8, v8
	s_delay_alu instid0(VALU_DEP_3) | instskip(NEXT) | instid1(VALU_DEP_1)
	v_add_co_u32 v43, s16, s42, v43
	v_add_co_ci_u32_e64 v44, s16, s43, v44, s16
	s_delay_alu instid0(VALU_DEP_3) | instskip(SKIP_4) | instid1(VALU_DEP_2)
	v_lshl_or_b32 v3, v3, 24, v8
	v_mov_b32_e32 v8, 1
	global_load_b32 v25, v[43:44], off
	v_add_nc_u32_e32 v43, v2, v5
	v_add_nc_u32_e32 v3, 0xff000000, v3
	v_ashrrev_i32_e32 v44, 31, v43
	s_delay_alu instid0(VALU_DEP_1) | instskip(NEXT) | instid1(VALU_DEP_1)
	v_lshlrev_b64 v[43:44], 2, v[43:44]
	v_add_co_u32 v45, s16, s26, v43
	s_delay_alu instid0(VALU_DEP_1) | instskip(SKIP_1) | instid1(VALU_DEP_1)
	v_add_co_ci_u32_e64 v46, s16, s27, v44, s16
	v_add_co_u32 v43, s16, s28, v43
	v_add_co_ci_u32_e64 v44, s16, s29, v44, s16
	global_store_b32 v[45:46], v3, off
	s_waitcnt vmcnt(0)
	global_store_b32 v[43:44], v25, off
.LBB40_60:                              ;   in Loop: Header=BB40_36 Depth=1
	s_or_b32 exec_lo, exec_lo, s17
	s_delay_alu instid0(VALU_DEP_1)
	v_add_nc_u32_e32 v2, v8, v2
	s_and_saveexec_b32 s16, s15
	s_cbranch_execz .LBB40_62
; %bb.61:                               ;   in Loop: Header=BB40_36 Depth=1
	v_add3_u32 v8, v15, s38, v42
	v_add3_u32 v1, v29, s30, 9
	s_delay_alu instid0(VALU_DEP_2) | instskip(NEXT) | instid1(VALU_DEP_2)
	v_lshlrev_b64 v[42:43], 2, v[8:9]
	v_and_b32_e32 v1, 0xfffff9, v1
	s_delay_alu instid0(VALU_DEP_1) | instskip(NEXT) | instid1(VALU_DEP_3)
	v_lshl_or_b32 v1, v41, 24, v1
	v_add_co_u32 v42, s15, s42, v42
	s_delay_alu instid0(VALU_DEP_1) | instskip(NEXT) | instid1(VALU_DEP_3)
	v_add_co_ci_u32_e64 v43, s15, s43, v43, s15
	v_dual_mov_b32 v1, 1 :: v_dual_add_nc_u32 v8, 0xff000000, v1
	global_load_b32 v3, v[42:43], off
	v_add_nc_u32_e32 v42, v2, v5
	s_delay_alu instid0(VALU_DEP_1) | instskip(NEXT) | instid1(VALU_DEP_1)
	v_ashrrev_i32_e32 v43, 31, v42
	v_lshlrev_b64 v[41:42], 2, v[42:43]
	s_delay_alu instid0(VALU_DEP_1) | instskip(NEXT) | instid1(VALU_DEP_1)
	v_add_co_u32 v43, s15, s26, v41
	v_add_co_ci_u32_e64 v44, s15, s27, v42, s15
	v_add_co_u32 v41, s15, s28, v41
	s_delay_alu instid0(VALU_DEP_1)
	v_add_co_ci_u32_e64 v42, s15, s29, v42, s15
	global_store_b32 v[43:44], v8, off
	s_waitcnt vmcnt(0)
	global_store_b32 v[41:42], v3, off
.LBB40_62:                              ;   in Loop: Header=BB40_36 Depth=1
	s_or_b32 exec_lo, exec_lo, s16
	s_delay_alu instid0(VALU_DEP_1)
	v_dual_mov_b32 v1, 0 :: v_dual_add_nc_u32 v2, v1, v2
	v_mov_b32_e32 v3, 0
	s_and_saveexec_b32 s15, s14
	s_cbranch_execz .LBB40_64
; %bb.63:                               ;   in Loop: Header=BB40_36 Depth=1
	v_add3_u32 v8, v14, s38, v40
	v_add3_u32 v3, v29, s30, 10
	s_delay_alu instid0(VALU_DEP_2) | instskip(NEXT) | instid1(VALU_DEP_2)
	v_lshlrev_b64 v[40:41], 2, v[8:9]
	v_and_b32_e32 v3, 0xfffffa, v3
	s_delay_alu instid0(VALU_DEP_1) | instskip(NEXT) | instid1(VALU_DEP_3)
	v_lshl_or_b32 v3, v39, 24, v3
	v_add_co_u32 v40, s14, s42, v40
	s_delay_alu instid0(VALU_DEP_1) | instskip(NEXT) | instid1(VALU_DEP_3)
	v_add_co_ci_u32_e64 v41, s14, s43, v41, s14
	v_add_nc_u32_e32 v25, 0xff000000, v3
	v_mov_b32_e32 v3, 1
	global_load_b32 v8, v[40:41], off
	v_add_nc_u32_e32 v40, v2, v5
	s_delay_alu instid0(VALU_DEP_1) | instskip(NEXT) | instid1(VALU_DEP_1)
	v_ashrrev_i32_e32 v41, 31, v40
	v_lshlrev_b64 v[39:40], 2, v[40:41]
	s_delay_alu instid0(VALU_DEP_1) | instskip(NEXT) | instid1(VALU_DEP_1)
	v_add_co_u32 v41, s14, s26, v39
	v_add_co_ci_u32_e64 v42, s14, s27, v40, s14
	v_add_co_u32 v39, s14, s28, v39
	s_delay_alu instid0(VALU_DEP_1)
	v_add_co_ci_u32_e64 v40, s14, s29, v40, s14
	global_store_b32 v[41:42], v25, off
	s_waitcnt vmcnt(0)
	global_store_b32 v[39:40], v8, off
.LBB40_64:                              ;   in Loop: Header=BB40_36 Depth=1
	s_or_b32 exec_lo, exec_lo, s15
	s_delay_alu instid0(VALU_DEP_1)
	v_add_nc_u32_e32 v2, v3, v2
	s_and_saveexec_b32 s14, s13
	s_cbranch_execz .LBB40_66
; %bb.65:                               ;   in Loop: Header=BB40_36 Depth=1
	v_add3_u32 v8, v13, s38, v38
	v_add3_u32 v1, v29, s30, 11
	s_delay_alu instid0(VALU_DEP_2) | instskip(NEXT) | instid1(VALU_DEP_2)
	v_lshlrev_b64 v[38:39], 2, v[8:9]
	v_and_b32_e32 v1, 0xfffffb, v1
	s_delay_alu instid0(VALU_DEP_1) | instskip(NEXT) | instid1(VALU_DEP_3)
	v_lshl_or_b32 v1, v23, 24, v1
	v_add_co_u32 v38, s13, s42, v38
	s_delay_alu instid0(VALU_DEP_1) | instskip(NEXT) | instid1(VALU_DEP_3)
	v_add_co_ci_u32_e64 v39, s13, s43, v39, s13
	v_dual_mov_b32 v1, 1 :: v_dual_add_nc_u32 v8, 0xff000000, v1
	global_load_b32 v3, v[38:39], off
	v_add_nc_u32_e32 v38, v2, v5
	s_delay_alu instid0(VALU_DEP_1) | instskip(NEXT) | instid1(VALU_DEP_1)
	v_ashrrev_i32_e32 v39, 31, v38
	v_lshlrev_b64 v[38:39], 2, v[38:39]
	s_delay_alu instid0(VALU_DEP_1) | instskip(NEXT) | instid1(VALU_DEP_1)
	v_add_co_u32 v40, s13, s26, v38
	v_add_co_ci_u32_e64 v41, s13, s27, v39, s13
	v_add_co_u32 v38, s13, s28, v38
	s_delay_alu instid0(VALU_DEP_1)
	v_add_co_ci_u32_e64 v39, s13, s29, v39, s13
	global_store_b32 v[40:41], v8, off
	s_waitcnt vmcnt(0)
	global_store_b32 v[38:39], v3, off
.LBB40_66:                              ;   in Loop: Header=BB40_36 Depth=1
	s_or_b32 exec_lo, exec_lo, s14
	s_delay_alu instid0(VALU_DEP_1)
	v_dual_mov_b32 v1, 0 :: v_dual_add_nc_u32 v2, v1, v2
	v_mov_b32_e32 v3, 0
	s_and_saveexec_b32 s13, s12
	s_cbranch_execz .LBB40_68
; %bb.67:                               ;   in Loop: Header=BB40_36 Depth=1
	v_add3_u32 v8, v12, s38, v37
	v_add3_u32 v3, v29, s30, 12
	s_delay_alu instid0(VALU_DEP_2) | instskip(NEXT) | instid1(VALU_DEP_2)
	v_lshlrev_b64 v[37:38], 2, v[8:9]
	v_and_b32_e32 v3, 0xfffffc, v3
	s_delay_alu instid0(VALU_DEP_1) | instskip(NEXT) | instid1(VALU_DEP_3)
	v_lshl_or_b32 v23, v4, 24, v3
	v_add_co_u32 v37, s12, s42, v37
	s_delay_alu instid0(VALU_DEP_1) | instskip(NEXT) | instid1(VALU_DEP_3)
	v_add_co_ci_u32_e64 v38, s12, s43, v38, s12
	v_add_nc_u32_e32 v23, 0xff000000, v23
	global_load_b32 v8, v[37:38], off
	v_add_nc_u32_e32 v37, v2, v5
	s_delay_alu instid0(VALU_DEP_1) | instskip(NEXT) | instid1(VALU_DEP_1)
	v_ashrrev_i32_e32 v38, 31, v37
	v_lshlrev_b64 v[3:4], 2, v[37:38]
	s_delay_alu instid0(VALU_DEP_1) | instskip(NEXT) | instid1(VALU_DEP_1)
	v_add_co_u32 v37, s12, s26, v3
	v_add_co_ci_u32_e64 v38, s12, s27, v4, s12
	v_add_co_u32 v39, s12, s28, v3
	v_mov_b32_e32 v3, 1
	v_add_co_ci_u32_e64 v40, s12, s29, v4, s12
	global_store_b32 v[37:38], v23, off
	s_waitcnt vmcnt(0)
	global_store_b32 v[39:40], v8, off
.LBB40_68:                              ;   in Loop: Header=BB40_36 Depth=1
	s_or_b32 exec_lo, exec_lo, s13
	s_delay_alu instid0(VALU_DEP_1)
	v_add_nc_u32_e32 v2, v3, v2
	s_and_saveexec_b32 s12, s11
	s_cbranch_execz .LBB40_70
; %bb.69:                               ;   in Loop: Header=BB40_36 Depth=1
	v_add3_u32 v8, v11, s38, v36
	v_add3_u32 v1, v29, s30, 13
	s_delay_alu instid0(VALU_DEP_2) | instskip(NEXT) | instid1(VALU_DEP_2)
	v_lshlrev_b64 v[3:4], 2, v[8:9]
	v_and_b32_e32 v1, 0xfffffd, v1
	s_delay_alu instid0(VALU_DEP_1) | instskip(NEXT) | instid1(VALU_DEP_3)
	v_lshl_or_b32 v1, v35, 24, v1
	v_add_co_u32 v3, s11, s42, v3
	s_delay_alu instid0(VALU_DEP_1) | instskip(NEXT) | instid1(VALU_DEP_3)
	v_add_co_ci_u32_e64 v4, s11, s43, v4, s11
	v_add_nc_u32_e32 v23, 0xff000000, v1
	v_mov_b32_e32 v1, 1
	global_load_b32 v8, v[3:4], off
	v_add_nc_u32_e32 v3, v2, v5
	s_delay_alu instid0(VALU_DEP_1) | instskip(NEXT) | instid1(VALU_DEP_1)
	v_ashrrev_i32_e32 v4, 31, v3
	v_lshlrev_b64 v[3:4], 2, v[3:4]
	s_delay_alu instid0(VALU_DEP_1) | instskip(NEXT) | instid1(VALU_DEP_1)
	v_add_co_u32 v35, s11, s26, v3
	v_add_co_ci_u32_e64 v36, s11, s27, v4, s11
	v_add_co_u32 v3, s11, s28, v3
	s_delay_alu instid0(VALU_DEP_1)
	v_add_co_ci_u32_e64 v4, s11, s29, v4, s11
	global_store_b32 v[35:36], v23, off
	s_waitcnt vmcnt(0)
	global_store_b32 v[3:4], v8, off
.LBB40_70:                              ;   in Loop: Header=BB40_36 Depth=1
	s_or_b32 exec_lo, exec_lo, s12
	s_delay_alu instid0(VALU_DEP_1)
	v_dual_mov_b32 v2, 0 :: v_dual_add_nc_u32 v1, v1, v2
	s_and_saveexec_b32 s11, s10
	s_cbranch_execz .LBB40_72
; %bb.71:                               ;   in Loop: Header=BB40_36 Depth=1
	v_add3_u32 v8, v10, s38, v34
	s_delay_alu instid0(VALU_DEP_1) | instskip(NEXT) | instid1(VALU_DEP_1)
	v_lshlrev_b64 v[2:3], 2, v[8:9]
	v_add_co_u32 v2, s10, s42, v2
	s_delay_alu instid0(VALU_DEP_1) | instskip(SKIP_3) | instid1(VALU_DEP_2)
	v_add_co_ci_u32_e64 v3, s10, s43, v3, s10
	global_load_b32 v4, v[2:3], off
	v_add3_u32 v3, v29, s30, 14
	v_add_nc_u32_e32 v2, v1, v5
	v_and_b32_e32 v8, 0xfffffe, v3
	s_delay_alu instid0(VALU_DEP_2) | instskip(NEXT) | instid1(VALU_DEP_2)
	v_ashrrev_i32_e32 v3, 31, v2
	v_lshl_or_b32 v8, v24, 24, v8
	s_delay_alu instid0(VALU_DEP_2) | instskip(NEXT) | instid1(VALU_DEP_2)
	v_lshlrev_b64 v[2:3], 2, v[2:3]
	v_add_nc_u32_e32 v8, 0xff000000, v8
	s_delay_alu instid0(VALU_DEP_2) | instskip(NEXT) | instid1(VALU_DEP_1)
	v_add_co_u32 v23, s10, s26, v2
	v_add_co_ci_u32_e64 v24, s10, s27, v3, s10
	v_add_co_u32 v34, s10, s28, v2
	v_mov_b32_e32 v2, 1
	v_add_co_ci_u32_e64 v35, s10, s29, v3, s10
	global_store_b32 v[23:24], v8, off
	s_waitcnt vmcnt(0)
	global_store_b32 v[34:35], v4, off
.LBB40_72:                              ;   in Loop: Header=BB40_36 Depth=1
	s_or_b32 exec_lo, exec_lo, s11
	s_and_saveexec_b32 s10, s9
	s_cbranch_execz .LBB40_35
; %bb.73:                               ;   in Loop: Header=BB40_36 Depth=1
	v_and_b32_e32 v23, 0xffff, v26
	v_add3_u32 v1, v1, v5, v2
	s_delay_alu instid0(VALU_DEP_2) | instskip(NEXT) | instid1(VALU_DEP_2)
	v_add3_u32 v8, v7, s38, v23
	v_ashrrev_i32_e32 v2, 31, v1
	s_delay_alu instid0(VALU_DEP_2) | instskip(NEXT) | instid1(VALU_DEP_2)
	v_lshlrev_b64 v[3:4], 2, v[8:9]
	v_lshlrev_b64 v[1:2], 2, v[1:2]
	s_delay_alu instid0(VALU_DEP_2) | instskip(NEXT) | instid1(VALU_DEP_1)
	v_add_co_u32 v3, s9, s42, v3
	v_add_co_ci_u32_e64 v4, s9, s43, v4, s9
	global_load_b32 v8, v[3:4], off
	v_add_nc_u32_e32 v3, -1, v23
	v_add3_u32 v4, v29, s30, 15
	s_delay_alu instid0(VALU_DEP_1) | instskip(SKIP_1) | instid1(VALU_DEP_1)
	v_perm_b32 v23, v3, v4, 0x4020100
	v_add_co_u32 v3, s9, s26, v1
	v_add_co_ci_u32_e64 v4, s9, s27, v2, s9
	v_add_co_u32 v1, s9, s28, v1
	s_delay_alu instid0(VALU_DEP_1)
	v_add_co_ci_u32_e64 v2, s9, s29, v2, s9
	global_store_b32 v[3:4], v23, off
	s_waitcnt vmcnt(0)
	global_store_b32 v[1:2], v8, off
	s_branch .LBB40_35
.LBB40_74:
	v_mov_b32_e32 v33, 0
.LBB40_75:
	s_waitcnt lgkmcnt(0)
	s_delay_alu instid0(VALU_DEP_1) | instskip(SKIP_1) | instid1(VALU_DEP_1)
	v_add3_u32 v0, v33, v5, v0
	s_mov_b32 s0, exec_lo
	v_cmpx_lt_i32_e64 v0, v6
	s_cbranch_execz .LBB40_78
; %bb.76:
	v_ashrrev_i32_e32 v1, 31, v0
	s_and_b32 s0, s33, 0xffffff
	s_lshl_b32 s1, s39, 24
	v_mov_b32_e32 v7, 0
	s_or_b32 s0, s0, s1
	v_lshlrev_b64 v[3:4], 2, v[0:1]
	v_mov_b32_e32 v5, s0
	s_mov_b32 s1, 0
	s_delay_alu instid0(VALU_DEP_2) | instskip(NEXT) | instid1(VALU_DEP_3)
	v_add_co_u32 v1, vcc_lo, s26, v3
	v_add_co_ci_u32_e32 v2, vcc_lo, s27, v4, vcc_lo
	v_add_co_u32 v3, vcc_lo, s28, v3
	v_add_co_ci_u32_e32 v4, vcc_lo, s29, v4, vcc_lo
	.p2align	6
.LBB40_77:                              ; =>This Inner Loop Header: Depth=1
	v_add_nc_u32_e32 v0, 0x100, v0
	global_store_b32 v[1:2], v5, off
	global_store_b32 v[3:4], v7, off
	v_add_co_u32 v1, vcc_lo, 0x400, v1
	v_add_co_ci_u32_e32 v2, vcc_lo, 0, v2, vcc_lo
	v_cmp_ge_i32_e32 vcc_lo, v0, v6
	v_add_co_u32 v3, s0, 0x400, v3
	s_delay_alu instid0(VALU_DEP_1) | instskip(SKIP_1) | instid1(SALU_CYCLE_1)
	v_add_co_ci_u32_e64 v4, s0, 0, v4, s0
	s_or_b32 s1, vcc_lo, s1
	s_and_not1_b32 exec_lo, exec_lo, s1
	s_cbranch_execnz .LBB40_77
.LBB40_78:
	s_nop 0
	s_sendmsg sendmsg(MSG_DEALLOC_VGPRS)
	s_endpgm
	.section	.rodata,"a",@progbits
	.p2align	6, 0x0
	.amdhsa_kernel _ZN5aiter22opus_moe_sorting_entryINS_30MoeSortingMultiPhaseKernel_P23INS_19MoeSortingProblemMpIifhLi16ELb0ELb1ELb1EEEEENS4_5KargsEEEvT0_
		.amdhsa_group_segment_fixed_size 0
		.amdhsa_private_segment_fixed_size 0
		.amdhsa_kernarg_size 400
		.amdhsa_user_sgpr_count 15
		.amdhsa_user_sgpr_dispatch_ptr 0
		.amdhsa_user_sgpr_queue_ptr 0
		.amdhsa_user_sgpr_kernarg_segment_ptr 1
		.amdhsa_user_sgpr_dispatch_id 0
		.amdhsa_user_sgpr_private_segment_size 0
		.amdhsa_wavefront_size32 1
		.amdhsa_uses_dynamic_stack 0
		.amdhsa_enable_private_segment 0
		.amdhsa_system_sgpr_workgroup_id_x 1
		.amdhsa_system_sgpr_workgroup_id_y 0
		.amdhsa_system_sgpr_workgroup_id_z 0
		.amdhsa_system_sgpr_workgroup_info 0
		.amdhsa_system_vgpr_workitem_id 0
		.amdhsa_next_free_vgpr 64
		.amdhsa_next_free_sgpr 44
		.amdhsa_reserve_vcc 1
		.amdhsa_float_round_mode_32 0
		.amdhsa_float_round_mode_16_64 0
		.amdhsa_float_denorm_mode_32 3
		.amdhsa_float_denorm_mode_16_64 3
		.amdhsa_dx10_clamp 1
		.amdhsa_ieee_mode 1
		.amdhsa_fp16_overflow 0
		.amdhsa_workgroup_processor_mode 1
		.amdhsa_memory_ordered 1
		.amdhsa_forward_progress 0
		.amdhsa_shared_vgpr_count 0
		.amdhsa_exception_fp_ieee_invalid_op 0
		.amdhsa_exception_fp_denorm_src 0
		.amdhsa_exception_fp_ieee_div_zero 0
		.amdhsa_exception_fp_ieee_overflow 0
		.amdhsa_exception_fp_ieee_underflow 0
		.amdhsa_exception_fp_ieee_inexact 0
		.amdhsa_exception_int_div_zero 0
	.end_amdhsa_kernel
	.section	.text._ZN5aiter22opus_moe_sorting_entryINS_30MoeSortingMultiPhaseKernel_P23INS_19MoeSortingProblemMpIifhLi16ELb0ELb1ELb1EEEEENS4_5KargsEEEvT0_,"axG",@progbits,_ZN5aiter22opus_moe_sorting_entryINS_30MoeSortingMultiPhaseKernel_P23INS_19MoeSortingProblemMpIifhLi16ELb0ELb1ELb1EEEEENS4_5KargsEEEvT0_,comdat
.Lfunc_end40:
	.size	_ZN5aiter22opus_moe_sorting_entryINS_30MoeSortingMultiPhaseKernel_P23INS_19MoeSortingProblemMpIifhLi16ELb0ELb1ELb1EEEEENS4_5KargsEEEvT0_, .Lfunc_end40-_ZN5aiter22opus_moe_sorting_entryINS_30MoeSortingMultiPhaseKernel_P23INS_19MoeSortingProblemMpIifhLi16ELb0ELb1ELb1EEEEENS4_5KargsEEEvT0_
                                        ; -- End function
	.section	.AMDGPU.csdata,"",@progbits
; Kernel info:
; codeLenInByte = 6252
; NumSgprs: 46
; NumVgprs: 64
; ScratchSize: 0
; MemoryBound: 0
; FloatMode: 240
; IeeeMode: 1
; LDSByteSize: 0 bytes/workgroup (compile time only)
; SGPRBlocks: 5
; VGPRBlocks: 7
; NumSGPRsForWavesPerEU: 46
; NumVGPRsForWavesPerEU: 64
; Occupancy: 16
; WaveLimiterHint : 1
; COMPUTE_PGM_RSRC2:SCRATCH_EN: 0
; COMPUTE_PGM_RSRC2:USER_SGPR: 15
; COMPUTE_PGM_RSRC2:TRAP_HANDLER: 0
; COMPUTE_PGM_RSRC2:TGID_X_EN: 1
; COMPUTE_PGM_RSRC2:TGID_Y_EN: 0
; COMPUTE_PGM_RSRC2:TGID_Z_EN: 0
; COMPUTE_PGM_RSRC2:TIDIG_COMP_CNT: 0
	.section	.text._ZN5aiter22opus_moe_sorting_entryINS_32MoeSortingMultiPhaseKernel_P0_v2INS_19MoeSortingProblemMpIifhLi4ELb0ELb0ELb1EEEEENS4_5KargsEEEvT0_,"axG",@progbits,_ZN5aiter22opus_moe_sorting_entryINS_32MoeSortingMultiPhaseKernel_P0_v2INS_19MoeSortingProblemMpIifhLi4ELb0ELb0ELb1EEEEENS4_5KargsEEEvT0_,comdat
	.protected	_ZN5aiter22opus_moe_sorting_entryINS_32MoeSortingMultiPhaseKernel_P0_v2INS_19MoeSortingProblemMpIifhLi4ELb0ELb0ELb1EEEEENS4_5KargsEEEvT0_ ; -- Begin function _ZN5aiter22opus_moe_sorting_entryINS_32MoeSortingMultiPhaseKernel_P0_v2INS_19MoeSortingProblemMpIifhLi4ELb0ELb0ELb1EEEEENS4_5KargsEEEvT0_
	.globl	_ZN5aiter22opus_moe_sorting_entryINS_32MoeSortingMultiPhaseKernel_P0_v2INS_19MoeSortingProblemMpIifhLi4ELb0ELb0ELb1EEEEENS4_5KargsEEEvT0_
	.p2align	8
	.type	_ZN5aiter22opus_moe_sorting_entryINS_32MoeSortingMultiPhaseKernel_P0_v2INS_19MoeSortingProblemMpIifhLi4ELb0ELb0ELb1EEEEENS4_5KargsEEEvT0_,@function
_ZN5aiter22opus_moe_sorting_entryINS_32MoeSortingMultiPhaseKernel_P0_v2INS_19MoeSortingProblemMpIifhLi4ELb0ELb0ELb1EEEEENS4_5KargsEEEvT0_: ; @_ZN5aiter22opus_moe_sorting_entryINS_32MoeSortingMultiPhaseKernel_P0_v2INS_19MoeSortingProblemMpIifhLi4ELb0ELb0ELb1EEEEENS4_5KargsEEEvT0_
; %bb.0:
	s_clause 0x2
	s_load_b128 s[4:7], s[0:1], 0x18
	s_load_b64 s[10:11], s[0:1], 0x10
	s_load_b32 s21, s[0:1], 0x28
	s_mov_b32 s8, s15
	s_mov_b32 s3, exec_lo
	s_waitcnt lgkmcnt(0)
	s_mul_i32 s9, s5, s15
	s_delay_alu instid0(SALU_CYCLE_1)
	s_ashr_i32 s20, s9, 31
	s_add_u32 s12, s10, s9
	s_addc_u32 s13, s11, s20
	v_cmpx_gt_i32_e64 s5, v0
	s_cbranch_execz .LBB41_8
; %bb.1:
	v_xad_u32 v2, v0, -1, s5
	v_mov_b32_e32 v1, v0
	s_mov_b32 s14, -1
	s_mov_b32 s2, exec_lo
	s_delay_alu instid0(VALU_DEP_2)
	v_cmpx_lt_u32_e32 0xdff, v2
	s_cbranch_execz .LBB41_5
; %bb.2:
	v_lshrrev_b32_e32 v1, 9, v2
	v_add_nc_u32_e32 v3, 0x600, v0
	v_or_b32_e32 v2, 0x400, v0
	s_mov_b32 s14, 0
	v_mov_b32_e32 v7, 0
	v_add_nc_u32_e32 v5, 1, v1
	v_add_nc_u32_e32 v1, 0x200, v0
	v_mov_b32_e32 v4, v3
	v_mov_b32_e32 v3, v2
	s_delay_alu instid0(VALU_DEP_3) | instskip(SKIP_1) | instid1(VALU_DEP_1)
	v_mov_b32_e32 v2, v1
	v_dual_mov_b32 v1, v0 :: v_dual_and_b32 v6, 0xfffff8, v5
	v_mov_b32_e32 v8, v6
.LBB41_3:                               ; =>This Inner Loop Header: Depth=1
	s_delay_alu instid0(VALU_DEP_2) | instskip(NEXT) | instid1(VALU_DEP_1)
	v_add_co_u32 v9, s15, s12, v1
	v_add_co_ci_u32_e64 v10, null, s13, 0, s15
	v_add_co_u32 v11, s15, s12, v2
	v_add_nc_u32_e32 v17, 0x800, v1
	v_add_co_ci_u32_e64 v12, null, s13, 0, s15
	v_add_co_u32 v13, s15, s12, v3
	v_add_nc_u32_e32 v19, 0x800, v2
	;; [unrolled: 3-line block ×3, first 2 shown]
	v_add_co_ci_u32_e64 v16, null, s13, 0, s15
	v_add_nc_u32_e32 v8, -8, v8
	v_add_co_u32 v17, s15, s12, v17
	v_add_nc_u32_e32 v23, 0x800, v4
	v_add_co_ci_u32_e64 v18, null, s13, 0, s15
	v_add_co_u32 v19, s15, s12, v19
	s_delay_alu instid0(VALU_DEP_1)
	v_add_co_ci_u32_e64 v20, null, s13, 0, s15
	v_add_co_u32 v21, s15, s12, v21
	v_cmp_eq_u32_e32 vcc_lo, 0, v8
	v_add_co_ci_u32_e64 v22, null, s13, 0, s15
	v_add_co_u32 v23, s15, s12, v23
	v_add_nc_u32_e32 v4, 0x1000, v4
	v_add_nc_u32_e32 v3, 0x1000, v3
	;; [unrolled: 1-line block ×4, first 2 shown]
	v_add_co_ci_u32_e64 v24, null, s13, 0, s15
	s_or_b32 s14, vcc_lo, s14
	s_clause 0x7
	global_store_b8 v[9:10], v7, off
	global_store_b8 v[11:12], v7, off
	;; [unrolled: 1-line block ×8, first 2 shown]
	s_and_not1_b32 exec_lo, exec_lo, s14
	s_cbranch_execnz .LBB41_3
; %bb.4:
	s_or_b32 exec_lo, exec_lo, s14
	v_cmp_ne_u32_e32 vcc_lo, v5, v6
	v_lshl_or_b32 v1, v6, 9, v0
	s_or_not1_b32 s14, vcc_lo, exec_lo
.LBB41_5:
	s_or_b32 exec_lo, exec_lo, s2
	s_delay_alu instid0(SALU_CYCLE_1)
	s_and_b32 exec_lo, exec_lo, s14
	s_cbranch_execz .LBB41_8
; %bb.6:
	v_mov_b32_e32 v2, 0
	s_mov_b32 s14, 0
	s_delay_alu instid0(VALU_DEP_1)
	v_dual_mov_b32 v4, v2 :: v_dual_mov_b32 v3, v1
.LBB41_7:                               ; =>This Inner Loop Header: Depth=1
	s_delay_alu instid0(VALU_DEP_1) | instskip(SKIP_1) | instid1(VALU_DEP_3)
	v_add_co_u32 v5, vcc_lo, s12, v3
	v_add_co_u32 v3, s2, 0x200, v3
	v_add_co_ci_u32_e32 v6, vcc_lo, s13, v4, vcc_lo
	v_add_co_ci_u32_e64 v4, vcc_lo, 0, v4, s2
	s_delay_alu instid0(VALU_DEP_3) | instskip(SKIP_2) | instid1(SALU_CYCLE_1)
	v_cmp_le_i32_e32 vcc_lo, s5, v3
	global_store_b8 v[5:6], v2, off
	s_or_b32 s14, vcc_lo, s14
	s_and_not1_b32 exec_lo, exec_lo, s14
	s_cbranch_execnz .LBB41_7
.LBB41_8:
	s_or_b32 exec_lo, exec_lo, s3
	s_load_b64 s[2:3], s[0:1], 0x38
	s_mul_i32 s4, s6, s4
	s_mov_b32 s22, exec_lo
	s_lshr_b32 s4, s4, 2
	s_waitcnt lgkmcnt(0)
	s_waitcnt_vscnt null, 0x0
	s_barrier
	buffer_gl0_inv
	v_cmpx_gt_u32_e64 s4, v0
	s_cbranch_execz .LBB41_56
; %bb.9:
	v_xad_u32 v16, v0, -1, s4
	s_load_b64 s[16:17], s[0:1], 0x0
	v_mov_b32_e32 v5, v0
	s_mov_b32 s15, 0
	s_mov_b32 s14, s7
	v_lshrrev_b32_e32 v1, 9, v16
	s_mov_b32 s1, exec_lo
	s_delay_alu instid0(VALU_DEP_1) | instskip(NEXT) | instid1(VALU_DEP_1)
	v_add_nc_u32_e32 v1, 1, v1
	v_and_b32_e32 v1, 3, v1
	s_delay_alu instid0(VALU_DEP_1)
	v_cmpx_ne_u32_e32 0, v1
	s_cbranch_execz .LBB41_21
; %bb.10:
	v_lshlrev_b32_e32 v17, 2, v0
	v_mad_u64_u32 v[2:3], null, v0, s14, 0
	v_lshlrev_b32_e32 v14, 4, v0
	v_lshlrev_b32_e32 v18, 11, v1
	s_delay_alu instid0(VALU_DEP_4) | instskip(SKIP_3) | instid1(VALU_DEP_4)
	v_or_b32_e32 v4, 3, v17
	v_or_b32_e32 v5, 2, v17
	v_mad_u64_u32 v[10:11], null, s14, v17, s[14:15]
	v_lshlrev_b64 v[12:13], 2, v[2:3]
	v_mad_u64_u32 v[6:7], null, v4, s14, 0
	s_delay_alu instid0(VALU_DEP_4) | instskip(SKIP_3) | instid1(VALU_DEP_1)
	v_mad_u64_u32 v[8:9], null, v5, s14, 0
	v_mov_b32_e32 v5, v0
	s_waitcnt lgkmcnt(0)
	v_add_co_u32 v14, s0, s16, v14
	v_add_co_ci_u32_e64 v15, null, s17, 0, s0
	s_sub_i32 s7, 0, s6
	s_lshl_b64 s[18:19], s[14:15], 11
	s_mov_b32 s23, s15
	s_branch .LBB41_12
.LBB41_11:                              ;   in Loop: Header=BB41_12 Depth=1
	s_or_b32 exec_lo, exec_lo, s0
	v_add_co_u32 v6, vcc_lo, v6, s18
	v_add_co_ci_u32_e32 v7, vcc_lo, s19, v7, vcc_lo
	v_add_co_u32 v8, vcc_lo, v8, s18
	v_add_co_ci_u32_e32 v9, vcc_lo, s19, v9, vcc_lo
	;; [unrolled: 2-line block ×3, first 2 shown]
	v_add_co_u32 v12, vcc_lo, v12, s18
	s_addk_i32 s23, 0x800
	v_add_co_ci_u32_e32 v13, vcc_lo, s19, v13, vcc_lo
	v_cmp_eq_u32_e32 vcc_lo, s23, v18
	v_add_co_u32 v14, s0, 0x2000, v14
	v_add_nc_u32_e32 v5, 0x200, v5
	v_add_co_ci_u32_e64 v15, s0, 0, v15, s0
	s_or_b32 s15, vcc_lo, s15
	s_delay_alu instid0(SALU_CYCLE_1)
	s_and_not1_b32 exec_lo, exec_lo, s15
	s_cbranch_execz .LBB41_20
.LBB41_12:                              ; =>This Inner Loop Header: Depth=1
	global_load_b128 v[1:4], v[14:15], off
	s_waitcnt vmcnt(0)
	v_cmp_eq_u32_e32 vcc_lo, s8, v1
	v_add_nc_u32_e32 v1, s23, v17
	s_and_saveexec_b32 s0, vcc_lo
	s_cbranch_execnz .LBB41_16
; %bb.13:                               ;   in Loop: Header=BB41_12 Depth=1
	s_or_b32 exec_lo, exec_lo, s0
	s_delay_alu instid0(SALU_CYCLE_1)
	s_mov_b32 s0, exec_lo
	v_cmpx_eq_u32_e64 s8, v2
	s_cbranch_execnz .LBB41_17
.LBB41_14:                              ;   in Loop: Header=BB41_12 Depth=1
	s_or_b32 exec_lo, exec_lo, s0
	s_delay_alu instid0(SALU_CYCLE_1)
	s_mov_b32 s0, exec_lo
	v_cmpx_eq_u32_e64 s8, v3
	s_cbranch_execnz .LBB41_18
.LBB41_15:                              ;   in Loop: Header=BB41_12 Depth=1
	s_or_b32 exec_lo, exec_lo, s0
	s_delay_alu instid0(SALU_CYCLE_1)
	s_mov_b32 s0, exec_lo
	v_cmpx_eq_u32_e64 s8, v4
	s_cbranch_execz .LBB41_11
	s_branch .LBB41_19
.LBB41_16:                              ;   in Loop: Header=BB41_12 Depth=1
	s_delay_alu instid0(VALU_DEP_1) | instskip(NEXT) | instid1(VALU_DEP_1)
	v_add_nc_u32_e32 v19, v1, v13
	v_lshrrev_b32_e32 v21, s21, v19
	s_delay_alu instid0(VALU_DEP_1) | instskip(NEXT) | instid1(VALU_DEP_1)
	v_mad_u64_u32 v[19:20], null, s7, v21, v[1:2]
	v_add_nc_u16 v19, v19, 1
	global_store_b8 v21, v19, s[12:13]
	s_or_b32 exec_lo, exec_lo, s0
	s_delay_alu instid0(SALU_CYCLE_1)
	s_mov_b32 s0, exec_lo
	v_cmpx_eq_u32_e64 s8, v2
	s_cbranch_execz .LBB41_14
.LBB41_17:                              ;   in Loop: Header=BB41_12 Depth=1
	v_add3_u32 v2, v11, v1, 1
	s_delay_alu instid0(VALU_DEP_1) | instskip(NEXT) | instid1(VALU_DEP_1)
	v_lshrrev_b32_e32 v2, s21, v2
	v_mad_u64_u32 v[19:20], null, s7, v2, v[1:2]
	s_delay_alu instid0(VALU_DEP_1) | instskip(SKIP_2) | instid1(SALU_CYCLE_1)
	v_add_nc_u16 v19, v19, 2
	global_store_b8 v2, v19, s[12:13]
	s_or_b32 exec_lo, exec_lo, s0
	s_mov_b32 s0, exec_lo
	v_cmpx_eq_u32_e64 s8, v3
	s_cbranch_execz .LBB41_15
.LBB41_18:                              ;   in Loop: Header=BB41_12 Depth=1
	v_add3_u32 v2, v9, v1, 2
	s_delay_alu instid0(VALU_DEP_1) | instskip(NEXT) | instid1(VALU_DEP_1)
	v_lshrrev_b32_e32 v19, s21, v2
	v_mad_u64_u32 v[2:3], null, s7, v19, v[1:2]
	s_delay_alu instid0(VALU_DEP_1) | instskip(SKIP_2) | instid1(SALU_CYCLE_1)
	v_add_nc_u16 v2, v2, 3
	global_store_b8 v19, v2, s[12:13]
	s_or_b32 exec_lo, exec_lo, s0
	s_mov_b32 s0, exec_lo
	v_cmpx_eq_u32_e64 s8, v4
	s_cbranch_execz .LBB41_11
.LBB41_19:                              ;   in Loop: Header=BB41_12 Depth=1
	v_add3_u32 v2, v7, v1, 3
	s_delay_alu instid0(VALU_DEP_1) | instskip(NEXT) | instid1(VALU_DEP_1)
	v_lshrrev_b32_e32 v4, s21, v2
	v_mad_u64_u32 v[2:3], null, s7, v4, v[1:2]
	s_delay_alu instid0(VALU_DEP_1)
	v_add_nc_u16 v1, v2, 4
	global_store_b8 v4, v1, s[12:13]
	s_branch .LBB41_11
.LBB41_20:
	s_or_b32 exec_lo, exec_lo, s15
.LBB41_21:
	s_delay_alu instid0(SALU_CYCLE_1)
	s_or_b32 exec_lo, exec_lo, s1
	v_cmp_lt_u32_e32 vcc_lo, 0x5ff, v16
	s_and_b32 exec_lo, exec_lo, vcc_lo
	s_cbranch_execz .LBB41_56
; %bb.22:
	v_lshlrev_b32_e32 v10, 2, v5
	v_mov_b32_e32 v6, 0
	s_mov_b32 s0, 0
	s_sub_i32 s1, 0, s6
	s_delay_alu instid0(VALU_DEP_2) | instskip(NEXT) | instid1(VALU_DEP_2)
	v_add_nc_u32_e32 v7, 0x1803, v10
	v_lshlrev_b64 v[1:2], 4, v[5:6]
	v_add_nc_u32_e32 v6, 0x1802, v10
	v_add_nc_u32_e32 v11, 0x1801, v10
	;; [unrolled: 1-line block ×5, first 2 shown]
	s_waitcnt lgkmcnt(0)
	v_add_co_u32 v8, vcc_lo, s16, v1
	v_add_co_ci_u32_e32 v9, vcc_lo, s17, v2, vcc_lo
	v_add_nc_u32_e32 v15, 0x1001, v10
	v_add_nc_u32_e32 v16, 0x1000, v10
	v_or_b32_e32 v17, 1, v10
	v_or_b32_e32 v18, 2, v10
	;; [unrolled: 1-line block ×3, first 2 shown]
	v_add_nc_u32_e32 v20, 0x803, v10
	v_add_nc_u32_e32 v21, 0x802, v10
	v_add_nc_u32_e32 v22, 0x801, v10
	v_add_nc_u32_e32 v23, 0x800, v10
	s_branch .LBB41_24
.LBB41_23:                              ;   in Loop: Header=BB41_24 Depth=1
	s_or_b32 exec_lo, exec_lo, s6
	v_add_nc_u32_e32 v5, 0x800, v5
	v_add_co_u32 v8, vcc_lo, 0x8000, v8
	v_add_co_ci_u32_e32 v9, vcc_lo, 0, v9, vcc_lo
	s_delay_alu instid0(VALU_DEP_3)
	v_cmp_le_u32_e32 vcc_lo, s4, v5
	v_add_nc_u32_e32 v7, 0x2000, v7
	v_add_nc_u32_e32 v6, 0x2000, v6
	v_add_nc_u32_e32 v11, 0x2000, v11
	v_add_nc_u32_e32 v12, 0x2000, v12
	v_add_nc_u32_e32 v13, 0x2000, v13
	v_add_nc_u32_e32 v14, 0x2000, v14
	v_add_nc_u32_e32 v15, 0x2000, v15
	v_add_nc_u32_e32 v16, 0x2000, v16
	v_add_nc_u32_e32 v10, 0x2000, v10
	v_add_nc_u32_e32 v17, 0x2000, v17
	v_add_nc_u32_e32 v18, 0x2000, v18
	v_add_nc_u32_e32 v19, 0x2000, v19
	v_add_nc_u32_e32 v20, 0x2000, v20
	v_add_nc_u32_e32 v21, 0x2000, v21
	v_add_nc_u32_e32 v22, 0x2000, v22
	v_add_nc_u32_e32 v23, 0x2000, v23
	s_or_b32 s0, vcc_lo, s0
	s_delay_alu instid0(SALU_CYCLE_1)
	s_and_not1_b32 exec_lo, exec_lo, s0
	s_cbranch_execz .LBB41_56
.LBB41_24:                              ; =>This Inner Loop Header: Depth=1
	global_load_b128 v[1:4], v[8:9], off
	s_mov_b32 s6, exec_lo
	s_waitcnt vmcnt(0)
	v_cmpx_eq_u32_e64 s8, v1
	s_cbranch_execnz .LBB41_43
; %bb.25:                               ;   in Loop: Header=BB41_24 Depth=1
	s_or_b32 exec_lo, exec_lo, s6
	s_delay_alu instid0(SALU_CYCLE_1)
	s_mov_b32 s6, exec_lo
	v_cmpx_eq_u32_e64 s8, v2
	s_cbranch_execnz .LBB41_44
.LBB41_26:                              ;   in Loop: Header=BB41_24 Depth=1
	s_or_b32 exec_lo, exec_lo, s6
	s_delay_alu instid0(SALU_CYCLE_1)
	s_mov_b32 s6, exec_lo
	v_cmpx_eq_u32_e64 s8, v3
	s_cbranch_execnz .LBB41_45
.LBB41_27:                              ;   in Loop: Header=BB41_24 Depth=1
	s_or_b32 exec_lo, exec_lo, s6
	s_delay_alu instid0(SALU_CYCLE_1)
	s_mov_b32 s6, exec_lo
	v_cmpx_eq_u32_e64 s8, v4
	s_cbranch_execz .LBB41_29
.LBB41_28:                              ;   in Loop: Header=BB41_24 Depth=1
	v_mul_hi_u32 v1, s14, v19
	s_delay_alu instid0(VALU_DEP_1) | instskip(NEXT) | instid1(VALU_DEP_1)
	v_add3_u32 v1, v7, v1, 0xffffe800
	v_lshrrev_b32_e32 v3, s21, v1
	s_delay_alu instid0(VALU_DEP_1) | instskip(NEXT) | instid1(VALU_DEP_1)
	v_mad_u64_u32 v[1:2], null, s1, v3, v[7:8]
	v_add_nc_u16 v1, v1, 1
	global_store_b8 v3, v1, s[12:13]
.LBB41_29:                              ;   in Loop: Header=BB41_24 Depth=1
	s_or_b32 exec_lo, exec_lo, s6
	v_add_co_u32 v1, vcc_lo, 0x2000, v8
	v_add_co_ci_u32_e32 v2, vcc_lo, 0, v9, vcc_lo
	s_mov_b32 s6, exec_lo
	global_load_b128 v[1:4], v[1:2], off
	s_waitcnt vmcnt(0)
	v_cmpx_eq_u32_e64 s8, v1
	s_cbranch_execnz .LBB41_46
; %bb.30:                               ;   in Loop: Header=BB41_24 Depth=1
	s_or_b32 exec_lo, exec_lo, s6
	s_delay_alu instid0(SALU_CYCLE_1)
	s_mov_b32 s6, exec_lo
	v_cmpx_eq_u32_e64 s8, v2
	s_cbranch_execnz .LBB41_47
.LBB41_31:                              ;   in Loop: Header=BB41_24 Depth=1
	s_or_b32 exec_lo, exec_lo, s6
	s_delay_alu instid0(SALU_CYCLE_1)
	s_mov_b32 s6, exec_lo
	v_cmpx_eq_u32_e64 s8, v3
	s_cbranch_execnz .LBB41_48
.LBB41_32:                              ;   in Loop: Header=BB41_24 Depth=1
	s_or_b32 exec_lo, exec_lo, s6
	s_delay_alu instid0(SALU_CYCLE_1)
	s_mov_b32 s6, exec_lo
	v_cmpx_eq_u32_e64 s8, v4
	s_cbranch_execz .LBB41_34
.LBB41_33:                              ;   in Loop: Header=BB41_24 Depth=1
	v_mul_hi_u32 v1, s14, v20
	s_delay_alu instid0(VALU_DEP_1) | instskip(NEXT) | instid1(VALU_DEP_1)
	v_add3_u32 v1, v7, v1, 0xfffff000
	v_lshrrev_b32_e32 v3, s21, v1
	s_delay_alu instid0(VALU_DEP_1) | instskip(NEXT) | instid1(VALU_DEP_1)
	v_mad_u64_u32 v[1:2], null, s1, v3, v[7:8]
	v_add_nc_u16 v1, v1, 1
	global_store_b8 v3, v1, s[12:13]
.LBB41_34:                              ;   in Loop: Header=BB41_24 Depth=1
	s_or_b32 exec_lo, exec_lo, s6
	v_add_co_u32 v1, vcc_lo, 0x4000, v8
	v_add_co_ci_u32_e32 v2, vcc_lo, 0, v9, vcc_lo
	s_mov_b32 s6, exec_lo
	global_load_b128 v[1:4], v[1:2], off
	s_waitcnt vmcnt(0)
	v_cmpx_eq_u32_e64 s8, v1
	s_cbranch_execnz .LBB41_49
; %bb.35:                               ;   in Loop: Header=BB41_24 Depth=1
	s_or_b32 exec_lo, exec_lo, s6
	s_delay_alu instid0(SALU_CYCLE_1)
	s_mov_b32 s6, exec_lo
	v_cmpx_eq_u32_e64 s8, v2
	s_cbranch_execnz .LBB41_50
.LBB41_36:                              ;   in Loop: Header=BB41_24 Depth=1
	s_or_b32 exec_lo, exec_lo, s6
	s_delay_alu instid0(SALU_CYCLE_1)
	s_mov_b32 s6, exec_lo
	v_cmpx_eq_u32_e64 s8, v3
	s_cbranch_execnz .LBB41_51
.LBB41_37:                              ;   in Loop: Header=BB41_24 Depth=1
	s_or_b32 exec_lo, exec_lo, s6
	s_delay_alu instid0(SALU_CYCLE_1)
	s_mov_b32 s6, exec_lo
	v_cmpx_eq_u32_e64 s8, v4
	s_cbranch_execz .LBB41_39
.LBB41_38:                              ;   in Loop: Header=BB41_24 Depth=1
	v_mul_hi_u32 v1, s14, v13
	s_delay_alu instid0(VALU_DEP_1) | instskip(NEXT) | instid1(VALU_DEP_1)
	v_add3_u32 v1, v7, v1, 0xfffff800
	v_lshrrev_b32_e32 v3, s21, v1
	s_delay_alu instid0(VALU_DEP_1) | instskip(NEXT) | instid1(VALU_DEP_1)
	v_mad_u64_u32 v[1:2], null, s1, v3, v[7:8]
	v_add_nc_u16 v1, v1, 1
	global_store_b8 v3, v1, s[12:13]
.LBB41_39:                              ;   in Loop: Header=BB41_24 Depth=1
	s_or_b32 exec_lo, exec_lo, s6
	v_add_co_u32 v1, vcc_lo, 0x6000, v8
	v_add_co_ci_u32_e32 v2, vcc_lo, 0, v9, vcc_lo
	s_mov_b32 s6, exec_lo
	global_load_b128 v[1:4], v[1:2], off
	s_waitcnt vmcnt(0)
	v_cmpx_eq_u32_e64 s8, v1
	s_cbranch_execnz .LBB41_52
; %bb.40:                               ;   in Loop: Header=BB41_24 Depth=1
	s_or_b32 exec_lo, exec_lo, s6
	s_delay_alu instid0(SALU_CYCLE_1)
	s_mov_b32 s6, exec_lo
	v_cmpx_eq_u32_e64 s8, v2
	s_cbranch_execnz .LBB41_53
.LBB41_41:                              ;   in Loop: Header=BB41_24 Depth=1
	s_or_b32 exec_lo, exec_lo, s6
	s_delay_alu instid0(SALU_CYCLE_1)
	s_mov_b32 s6, exec_lo
	v_cmpx_eq_u32_e64 s8, v3
	s_cbranch_execnz .LBB41_54
.LBB41_42:                              ;   in Loop: Header=BB41_24 Depth=1
	s_or_b32 exec_lo, exec_lo, s6
	s_delay_alu instid0(SALU_CYCLE_1)
	s_mov_b32 s6, exec_lo
	v_cmpx_eq_u32_e64 s8, v4
	s_cbranch_execz .LBB41_23
	s_branch .LBB41_55
.LBB41_43:                              ;   in Loop: Header=BB41_24 Depth=1
	v_mul_hi_u32 v1, s14, v10
	s_delay_alu instid0(VALU_DEP_1) | instskip(NEXT) | instid1(VALU_DEP_1)
	v_add3_u32 v1, v7, v1, 0xffffe7fd
	v_lshrrev_b32_e32 v1, s21, v1
	s_delay_alu instid0(VALU_DEP_1) | instskip(NEXT) | instid1(VALU_DEP_1)
	v_mad_u64_u32 v[24:25], null, s1, v1, v[7:8]
	v_add_nc_u16 v24, v24, -2
	global_store_b8 v1, v24, s[12:13]
	s_or_b32 exec_lo, exec_lo, s6
	s_delay_alu instid0(SALU_CYCLE_1)
	s_mov_b32 s6, exec_lo
	v_cmpx_eq_u32_e64 s8, v2
	s_cbranch_execz .LBB41_26
.LBB41_44:                              ;   in Loop: Header=BB41_24 Depth=1
	v_mul_hi_u32 v1, s14, v17
	s_delay_alu instid0(VALU_DEP_1) | instskip(NEXT) | instid1(VALU_DEP_1)
	v_add3_u32 v1, v7, v1, 0xffffe7fe
	v_lshrrev_b32_e32 v24, s21, v1
	s_delay_alu instid0(VALU_DEP_1) | instskip(NEXT) | instid1(VALU_DEP_1)
	v_mad_u64_u32 v[1:2], null, s1, v24, v[7:8]
	v_add_nc_u16 v1, v1, -1
	global_store_b8 v24, v1, s[12:13]
	s_or_b32 exec_lo, exec_lo, s6
	s_delay_alu instid0(SALU_CYCLE_1)
	s_mov_b32 s6, exec_lo
	v_cmpx_eq_u32_e64 s8, v3
	s_cbranch_execz .LBB41_27
.LBB41_45:                              ;   in Loop: Header=BB41_24 Depth=1
	v_mul_hi_u32 v1, s14, v18
	s_delay_alu instid0(VALU_DEP_1) | instskip(NEXT) | instid1(VALU_DEP_1)
	v_add3_u32 v1, v7, v1, 0xffffe7ff
	v_lshrrev_b32_e32 v3, s21, v1
	s_delay_alu instid0(VALU_DEP_1) | instskip(SKIP_2) | instid1(SALU_CYCLE_1)
	v_mad_u64_u32 v[1:2], null, s1, v3, v[7:8]
	global_store_b8 v3, v1, s[12:13]
	s_or_b32 exec_lo, exec_lo, s6
	s_mov_b32 s6, exec_lo
	v_cmpx_eq_u32_e64 s8, v4
	s_cbranch_execnz .LBB41_28
	s_branch .LBB41_29
.LBB41_46:                              ;   in Loop: Header=BB41_24 Depth=1
	v_mul_hi_u32 v1, s14, v23
	s_delay_alu instid0(VALU_DEP_1) | instskip(NEXT) | instid1(VALU_DEP_1)
	v_add3_u32 v1, v7, v1, 0xffffeffd
	v_lshrrev_b32_e32 v1, s21, v1
	s_delay_alu instid0(VALU_DEP_1) | instskip(NEXT) | instid1(VALU_DEP_1)
	v_mad_u64_u32 v[24:25], null, s1, v1, v[7:8]
	v_add_nc_u16 v24, v24, -2
	global_store_b8 v1, v24, s[12:13]
	s_or_b32 exec_lo, exec_lo, s6
	s_delay_alu instid0(SALU_CYCLE_1)
	s_mov_b32 s6, exec_lo
	v_cmpx_eq_u32_e64 s8, v2
	s_cbranch_execz .LBB41_31
.LBB41_47:                              ;   in Loop: Header=BB41_24 Depth=1
	v_mul_hi_u32 v1, s14, v22
	s_delay_alu instid0(VALU_DEP_1) | instskip(NEXT) | instid1(VALU_DEP_1)
	v_add3_u32 v1, v7, v1, 0xffffeffe
	v_lshrrev_b32_e32 v24, s21, v1
	s_delay_alu instid0(VALU_DEP_1) | instskip(NEXT) | instid1(VALU_DEP_1)
	v_mad_u64_u32 v[1:2], null, s1, v24, v[7:8]
	v_add_nc_u16 v1, v1, -1
	global_store_b8 v24, v1, s[12:13]
	s_or_b32 exec_lo, exec_lo, s6
	s_delay_alu instid0(SALU_CYCLE_1)
	s_mov_b32 s6, exec_lo
	v_cmpx_eq_u32_e64 s8, v3
	s_cbranch_execz .LBB41_32
.LBB41_48:                              ;   in Loop: Header=BB41_24 Depth=1
	v_mul_hi_u32 v1, s14, v21
	s_delay_alu instid0(VALU_DEP_1) | instskip(NEXT) | instid1(VALU_DEP_1)
	v_add3_u32 v1, v7, v1, 0xffffefff
	v_lshrrev_b32_e32 v3, s21, v1
	s_delay_alu instid0(VALU_DEP_1) | instskip(SKIP_2) | instid1(SALU_CYCLE_1)
	v_mad_u64_u32 v[1:2], null, s1, v3, v[7:8]
	global_store_b8 v3, v1, s[12:13]
	s_or_b32 exec_lo, exec_lo, s6
	s_mov_b32 s6, exec_lo
	v_cmpx_eq_u32_e64 s8, v4
	s_cbranch_execnz .LBB41_33
	s_branch .LBB41_34
.LBB41_49:                              ;   in Loop: Header=BB41_24 Depth=1
	v_mul_hi_u32 v1, s14, v16
	s_delay_alu instid0(VALU_DEP_1) | instskip(NEXT) | instid1(VALU_DEP_1)
	v_add3_u32 v1, v7, v1, 0xfffff7fd
	v_lshrrev_b32_e32 v1, s21, v1
	s_delay_alu instid0(VALU_DEP_1) | instskip(NEXT) | instid1(VALU_DEP_1)
	v_mad_u64_u32 v[24:25], null, s1, v1, v[7:8]
	v_add_nc_u16 v24, v24, -2
	global_store_b8 v1, v24, s[12:13]
	s_or_b32 exec_lo, exec_lo, s6
	s_delay_alu instid0(SALU_CYCLE_1)
	s_mov_b32 s6, exec_lo
	v_cmpx_eq_u32_e64 s8, v2
	s_cbranch_execz .LBB41_36
.LBB41_50:                              ;   in Loop: Header=BB41_24 Depth=1
	v_mul_hi_u32 v1, s14, v15
	s_delay_alu instid0(VALU_DEP_1) | instskip(NEXT) | instid1(VALU_DEP_1)
	v_add3_u32 v1, v7, v1, 0xfffff7fe
	v_lshrrev_b32_e32 v24, s21, v1
	s_delay_alu instid0(VALU_DEP_1) | instskip(NEXT) | instid1(VALU_DEP_1)
	v_mad_u64_u32 v[1:2], null, s1, v24, v[7:8]
	v_add_nc_u16 v1, v1, -1
	global_store_b8 v24, v1, s[12:13]
	s_or_b32 exec_lo, exec_lo, s6
	s_delay_alu instid0(SALU_CYCLE_1)
	s_mov_b32 s6, exec_lo
	v_cmpx_eq_u32_e64 s8, v3
	s_cbranch_execz .LBB41_37
.LBB41_51:                              ;   in Loop: Header=BB41_24 Depth=1
	v_mul_hi_u32 v1, s14, v14
	s_delay_alu instid0(VALU_DEP_1) | instskip(NEXT) | instid1(VALU_DEP_1)
	v_add3_u32 v1, v7, v1, 0xfffff7ff
	v_lshrrev_b32_e32 v3, s21, v1
	s_delay_alu instid0(VALU_DEP_1) | instskip(SKIP_2) | instid1(SALU_CYCLE_1)
	v_mad_u64_u32 v[1:2], null, s1, v3, v[7:8]
	global_store_b8 v3, v1, s[12:13]
	s_or_b32 exec_lo, exec_lo, s6
	s_mov_b32 s6, exec_lo
	v_cmpx_eq_u32_e64 s8, v4
	s_cbranch_execnz .LBB41_38
	s_branch .LBB41_39
.LBB41_52:                              ;   in Loop: Header=BB41_24 Depth=1
	v_mul_hi_u32 v1, s14, v12
	s_delay_alu instid0(VALU_DEP_1) | instskip(NEXT) | instid1(VALU_DEP_1)
	v_add3_u32 v1, v7, v1, -3
	v_lshrrev_b32_e32 v1, s21, v1
	s_delay_alu instid0(VALU_DEP_1) | instskip(NEXT) | instid1(VALU_DEP_1)
	v_mad_u64_u32 v[24:25], null, s1, v1, v[7:8]
	v_add_nc_u16 v24, v24, -2
	global_store_b8 v1, v24, s[12:13]
	s_or_b32 exec_lo, exec_lo, s6
	s_delay_alu instid0(SALU_CYCLE_1)
	s_mov_b32 s6, exec_lo
	v_cmpx_eq_u32_e64 s8, v2
	s_cbranch_execz .LBB41_41
.LBB41_53:                              ;   in Loop: Header=BB41_24 Depth=1
	v_mul_hi_u32 v1, s14, v11
	s_delay_alu instid0(VALU_DEP_1) | instskip(NEXT) | instid1(VALU_DEP_1)
	v_add3_u32 v1, v7, v1, -2
	v_lshrrev_b32_e32 v24, s21, v1
	s_delay_alu instid0(VALU_DEP_1) | instskip(NEXT) | instid1(VALU_DEP_1)
	v_mad_u64_u32 v[1:2], null, s1, v24, v[7:8]
	v_add_nc_u16 v1, v1, -1
	global_store_b8 v24, v1, s[12:13]
	s_or_b32 exec_lo, exec_lo, s6
	s_delay_alu instid0(SALU_CYCLE_1)
	s_mov_b32 s6, exec_lo
	v_cmpx_eq_u32_e64 s8, v3
	s_cbranch_execz .LBB41_42
.LBB41_54:                              ;   in Loop: Header=BB41_24 Depth=1
	v_mul_hi_u32 v1, s14, v6
	s_delay_alu instid0(VALU_DEP_1) | instskip(NEXT) | instid1(VALU_DEP_1)
	v_add3_u32 v1, v7, v1, -1
	v_lshrrev_b32_e32 v3, s21, v1
	s_delay_alu instid0(VALU_DEP_1) | instskip(SKIP_2) | instid1(SALU_CYCLE_1)
	v_mad_u64_u32 v[1:2], null, s1, v3, v[7:8]
	global_store_b8 v3, v1, s[12:13]
	s_or_b32 exec_lo, exec_lo, s6
	s_mov_b32 s6, exec_lo
	v_cmpx_eq_u32_e64 s8, v4
	s_cbranch_execz .LBB41_23
.LBB41_55:                              ;   in Loop: Header=BB41_24 Depth=1
	v_mul_hi_u32 v1, s14, v7
	s_delay_alu instid0(VALU_DEP_1) | instskip(NEXT) | instid1(VALU_DEP_1)
	v_add_nc_u32_e32 v1, v7, v1
	v_lshrrev_b32_e32 v3, s21, v1
	s_delay_alu instid0(VALU_DEP_1) | instskip(NEXT) | instid1(VALU_DEP_1)
	v_mad_u64_u32 v[1:2], null, s1, v3, v[7:8]
	v_add_nc_u16 v1, v1, 1
	global_store_b8 v3, v1, s[12:13]
	s_branch .LBB41_23
.LBB41_56:
	s_or_b32 exec_lo, exec_lo, s22
	v_mov_b32_e32 v3, 0
	s_cmp_lt_i32 s5, 4
	s_waitcnt lgkmcnt(0)
	s_waitcnt_vscnt null, 0x0
	s_barrier
	buffer_gl0_inv
	s_cbranch_scc1 .LBB41_61
; %bb.57:
	s_ashr_i32 s0, s5, 31
	v_mbcnt_lo_u32_b32 v1, -1, 0
	s_lshr_b32 s0, s0, 30
	v_mov_b32_e32 v3, 0
	s_add_i32 s0, s5, s0
	v_mov_b32_e32 v9, v0
	v_lshlrev_b32_e32 v1, 2, v1
	s_ashr_i32 s0, s0, 2
	s_delay_alu instid0(SALU_CYCLE_1) | instskip(NEXT) | instid1(SALU_CYCLE_1)
	s_add_i32 s1, s0, 0x1ff
	s_lshr_b32 s1, s1, 9
	s_delay_alu instid0(VALU_DEP_1)
	v_xor_b32_e32 v4, 4, v1
	v_xor_b32_e32 v5, 8, v1
	;; [unrolled: 1-line block ×5, first 2 shown]
	v_lshlrev_b32_e32 v1, 2, v0
	s_max_u32 s1, s1, 1
	s_add_u32 s4, s10, s9
	s_addc_u32 s5, s11, s20
	s_delay_alu instid0(VALU_DEP_1) | instskip(NEXT) | instid1(VALU_DEP_1)
	v_add_co_u32 v1, s4, s4, v1
	v_add_co_ci_u32_e64 v2, null, s5, 0, s4
	s_branch .LBB41_59
.LBB41_58:                              ;   in Loop: Header=BB41_59 Depth=1
	s_or_b32 exec_lo, exec_lo, s4
	s_waitcnt vmcnt(0)
	v_lshrrev_b32_e32 v11, 8, v10
	v_lshrrev_b32_e32 v12, 16, v10
	v_and_b32_e32 v13, 0xff, v10
	v_lshrrev_b32_e32 v10, 24, v10
	v_add_nc_u32_e32 v9, 0x200, v9
	v_and_b32_e32 v11, 0xff, v11
	v_and_b32_e32 v12, 0xff, v12
	s_add_i32 s1, s1, -1
	s_delay_alu instid0(SALU_CYCLE_1) | instskip(NEXT) | instid1(VALU_DEP_2)
	s_cmp_eq_u32 s1, 0
	v_cmp_ne_u16_e32 vcc_lo, 0, v11
	v_cndmask_b32_e64 v11, 0, 1, vcc_lo
	v_cmp_ne_u16_e32 vcc_lo, 0, v12
	v_cndmask_b32_e64 v12, 0, 1, vcc_lo
	v_cmp_ne_u16_e32 vcc_lo, 0, v13
	s_delay_alu instid0(VALU_DEP_4) | instskip(SKIP_1) | instid1(VALU_DEP_2)
	v_add_co_ci_u32_e32 v11, vcc_lo, 0, v11, vcc_lo
	v_cmp_ne_u16_e32 vcc_lo, 0, v10
	v_add_co_ci_u32_e32 v10, vcc_lo, v11, v12, vcc_lo
	v_add_co_u32 v1, vcc_lo, 0x800, v1
	v_add_co_ci_u32_e32 v2, vcc_lo, 0, v2, vcc_lo
	ds_bpermute_b32 v11, v4, v10
	s_waitcnt lgkmcnt(0)
	v_add_nc_u32_e32 v10, v10, v11
	ds_bpermute_b32 v11, v5, v10
	s_waitcnt lgkmcnt(0)
	v_add_nc_u32_e32 v10, v10, v11
	;; [unrolled: 3-line block ×4, first 2 shown]
	ds_bpermute_b32 v11, v8, v10
	s_waitcnt lgkmcnt(0)
	v_add3_u32 v3, v11, v3, v10
	s_cbranch_scc1 .LBB41_61
.LBB41_59:                              ; =>This Inner Loop Header: Depth=1
	v_mov_b32_e32 v10, 0
	s_mov_b32 s4, exec_lo
	v_cmpx_gt_i32_e64 s0, v9
	s_cbranch_execz .LBB41_58
; %bb.60:                               ;   in Loop: Header=BB41_59 Depth=1
	global_load_b32 v10, v[1:2], off
	s_branch .LBB41_58
.LBB41_61:
	v_and_b32_e32 v1, 31, v0
	s_mov_b32 s0, exec_lo
	s_delay_alu instid0(VALU_DEP_1)
	v_cmpx_eq_u32_e32 0, v1
	s_cbranch_execz .LBB41_63
; %bb.62:
	v_lshrrev_b32_e32 v1, 3, v0
	s_delay_alu instid0(VALU_DEP_1)
	v_and_b32_e32 v1, 0x7c, v1
	ds_store_b32 v1, v3
.LBB41_63:
	s_or_b32 exec_lo, exec_lo, s0
	s_waitcnt lgkmcnt(0)
	s_barrier
	buffer_gl0_inv
	s_mov_b32 s0, exec_lo
	v_cmpx_eq_u32_e32 0, v0
	s_cbranch_execz .LBB41_65
; %bb.64:
	v_mov_b32_e32 v8, 0
	s_ashr_i32 s9, s8, 31
	ds_load_b128 v[0:3], v8
	ds_load_b128 v[4:7], v8 offset:16
	s_lshl_b64 s[0:1], s[8:9], 2
	s_delay_alu instid0(SALU_CYCLE_1) | instskip(SKIP_3) | instid1(VALU_DEP_1)
	s_add_u32 s0, s2, s0
	s_addc_u32 s1, s3, s1
	s_waitcnt lgkmcnt(1)
	v_add_nc_u32_e32 v0, v1, v0
	v_add_nc_u32_e32 v0, v0, v2
	s_delay_alu instid0(VALU_DEP_1) | instskip(SKIP_1) | instid1(VALU_DEP_1)
	v_add_nc_u32_e32 v0, v0, v3
	s_waitcnt lgkmcnt(0)
	v_add_nc_u32_e32 v4, v0, v4
	s_delay_alu instid0(VALU_DEP_1) | instskip(NEXT) | instid1(VALU_DEP_1)
	v_add_nc_u32_e32 v4, v4, v5
	v_add_nc_u32_e32 v4, v4, v6
	s_delay_alu instid0(VALU_DEP_1) | instskip(SKIP_4) | instid1(VALU_DEP_1)
	v_add_nc_u32_e32 v9, v4, v7
	ds_load_b128 v[0:3], v8 offset:32
	ds_load_b128 v[4:7], v8 offset:48
	s_waitcnt lgkmcnt(1)
	v_add_nc_u32_e32 v0, v9, v0
	v_add_nc_u32_e32 v0, v0, v1
	s_delay_alu instid0(VALU_DEP_1) | instskip(NEXT) | instid1(VALU_DEP_1)
	v_add_nc_u32_e32 v0, v0, v2
	v_add_nc_u32_e32 v0, v0, v3
	s_waitcnt lgkmcnt(0)
	s_delay_alu instid0(VALU_DEP_1) | instskip(NEXT) | instid1(VALU_DEP_1)
	v_add_nc_u32_e32 v0, v0, v4
	v_add_nc_u32_e32 v0, v0, v5
	s_delay_alu instid0(VALU_DEP_1) | instskip(NEXT) | instid1(VALU_DEP_1)
	v_add_nc_u32_e32 v0, v0, v6
	v_add_nc_u32_e32 v0, v0, v7
	global_store_b32 v8, v0, s[0:1]
.LBB41_65:
	s_nop 0
	s_sendmsg sendmsg(MSG_DEALLOC_VGPRS)
	s_endpgm
	.section	.rodata,"a",@progbits
	.p2align	6, 0x0
	.amdhsa_kernel _ZN5aiter22opus_moe_sorting_entryINS_32MoeSortingMultiPhaseKernel_P0_v2INS_19MoeSortingProblemMpIifhLi4ELb0ELb0ELb1EEEEENS4_5KargsEEEvT0_
		.amdhsa_group_segment_fixed_size 64
		.amdhsa_private_segment_fixed_size 0
		.amdhsa_kernarg_size 72
		.amdhsa_user_sgpr_count 15
		.amdhsa_user_sgpr_dispatch_ptr 0
		.amdhsa_user_sgpr_queue_ptr 0
		.amdhsa_user_sgpr_kernarg_segment_ptr 1
		.amdhsa_user_sgpr_dispatch_id 0
		.amdhsa_user_sgpr_private_segment_size 0
		.amdhsa_wavefront_size32 1
		.amdhsa_uses_dynamic_stack 0
		.amdhsa_enable_private_segment 0
		.amdhsa_system_sgpr_workgroup_id_x 1
		.amdhsa_system_sgpr_workgroup_id_y 0
		.amdhsa_system_sgpr_workgroup_id_z 0
		.amdhsa_system_sgpr_workgroup_info 0
		.amdhsa_system_vgpr_workitem_id 0
		.amdhsa_next_free_vgpr 26
		.amdhsa_next_free_sgpr 24
		.amdhsa_reserve_vcc 1
		.amdhsa_float_round_mode_32 0
		.amdhsa_float_round_mode_16_64 0
		.amdhsa_float_denorm_mode_32 3
		.amdhsa_float_denorm_mode_16_64 3
		.amdhsa_dx10_clamp 1
		.amdhsa_ieee_mode 1
		.amdhsa_fp16_overflow 0
		.amdhsa_workgroup_processor_mode 1
		.amdhsa_memory_ordered 1
		.amdhsa_forward_progress 0
		.amdhsa_shared_vgpr_count 0
		.amdhsa_exception_fp_ieee_invalid_op 0
		.amdhsa_exception_fp_denorm_src 0
		.amdhsa_exception_fp_ieee_div_zero 0
		.amdhsa_exception_fp_ieee_overflow 0
		.amdhsa_exception_fp_ieee_underflow 0
		.amdhsa_exception_fp_ieee_inexact 0
		.amdhsa_exception_int_div_zero 0
	.end_amdhsa_kernel
	.section	.text._ZN5aiter22opus_moe_sorting_entryINS_32MoeSortingMultiPhaseKernel_P0_v2INS_19MoeSortingProblemMpIifhLi4ELb0ELb0ELb1EEEEENS4_5KargsEEEvT0_,"axG",@progbits,_ZN5aiter22opus_moe_sorting_entryINS_32MoeSortingMultiPhaseKernel_P0_v2INS_19MoeSortingProblemMpIifhLi4ELb0ELb0ELb1EEEEENS4_5KargsEEEvT0_,comdat
.Lfunc_end41:
	.size	_ZN5aiter22opus_moe_sorting_entryINS_32MoeSortingMultiPhaseKernel_P0_v2INS_19MoeSortingProblemMpIifhLi4ELb0ELb0ELb1EEEEENS4_5KargsEEEvT0_, .Lfunc_end41-_ZN5aiter22opus_moe_sorting_entryINS_32MoeSortingMultiPhaseKernel_P0_v2INS_19MoeSortingProblemMpIifhLi4ELb0ELb0ELb1EEEEENS4_5KargsEEEvT0_
                                        ; -- End function
	.section	.AMDGPU.csdata,"",@progbits
; Kernel info:
; codeLenInByte = 3868
; NumSgprs: 26
; NumVgprs: 26
; ScratchSize: 0
; MemoryBound: 0
; FloatMode: 240
; IeeeMode: 1
; LDSByteSize: 64 bytes/workgroup (compile time only)
; SGPRBlocks: 3
; VGPRBlocks: 3
; NumSGPRsForWavesPerEU: 26
; NumVGPRsForWavesPerEU: 26
; Occupancy: 16
; WaveLimiterHint : 0
; COMPUTE_PGM_RSRC2:SCRATCH_EN: 0
; COMPUTE_PGM_RSRC2:USER_SGPR: 15
; COMPUTE_PGM_RSRC2:TRAP_HANDLER: 0
; COMPUTE_PGM_RSRC2:TGID_X_EN: 1
; COMPUTE_PGM_RSRC2:TGID_Y_EN: 0
; COMPUTE_PGM_RSRC2:TGID_Z_EN: 0
; COMPUTE_PGM_RSRC2:TIDIG_COMP_CNT: 0
	.section	.text._ZN5aiter22opus_moe_sorting_entryINS_30MoeSortingMultiPhaseKernel_P23INS_19MoeSortingProblemMpIifhLi16ELb0ELb0ELb1EEEEENS4_5KargsEEEvT0_,"axG",@progbits,_ZN5aiter22opus_moe_sorting_entryINS_30MoeSortingMultiPhaseKernel_P23INS_19MoeSortingProblemMpIifhLi16ELb0ELb0ELb1EEEEENS4_5KargsEEEvT0_,comdat
	.protected	_ZN5aiter22opus_moe_sorting_entryINS_30MoeSortingMultiPhaseKernel_P23INS_19MoeSortingProblemMpIifhLi16ELb0ELb0ELb1EEEEENS4_5KargsEEEvT0_ ; -- Begin function _ZN5aiter22opus_moe_sorting_entryINS_30MoeSortingMultiPhaseKernel_P23INS_19MoeSortingProblemMpIifhLi16ELb0ELb0ELb1EEEEENS4_5KargsEEEvT0_
	.globl	_ZN5aiter22opus_moe_sorting_entryINS_30MoeSortingMultiPhaseKernel_P23INS_19MoeSortingProblemMpIifhLi16ELb0ELb0ELb1EEEEENS4_5KargsEEEvT0_
	.p2align	8
	.type	_ZN5aiter22opus_moe_sorting_entryINS_30MoeSortingMultiPhaseKernel_P23INS_19MoeSortingProblemMpIifhLi16ELb0ELb0ELb1EEEEENS4_5KargsEEEvT0_,@function
_ZN5aiter22opus_moe_sorting_entryINS_30MoeSortingMultiPhaseKernel_P23INS_19MoeSortingProblemMpIifhLi16ELb0ELb0ELb1EEEEENS4_5KargsEEEvT0_: ; @_ZN5aiter22opus_moe_sorting_entryINS_30MoeSortingMultiPhaseKernel_P23INS_19MoeSortingProblemMpIifhLi16ELb0ELb0ELb1EEEEENS4_5KargsEEEvT0_
; %bb.0:
	s_clause 0x1
	s_load_b128 s[28:31], s[0:1], 0x60
	s_load_b512 s[36:51], s[0:1], 0x20
	s_mov_b32 s3, -1
	s_waitcnt lgkmcnt(0)
	s_cmp_lt_i32 s15, s29
	s_cbranch_scc1 .LBB42_5
; %bb.1:
	s_load_b64 s[2:3], s[0:1], 0x84
	v_mov_b32_e32 v2, 0
	s_mov_b32 s10, exec_lo
	s_waitcnt lgkmcnt(0)
	s_ashr_i32 s4, s2, 31
	s_mul_i32 s5, s3, s28
	s_mul_hi_i32 s3, s3, s28
	s_mul_i32 s4, s5, s4
	s_mul_hi_u32 s6, s5, s2
	s_mul_i32 s3, s3, s2
	s_add_i32 s4, s6, s4
	s_mul_i32 s5, s5, s2
	s_add_i32 s4, s4, s3
	s_sub_i32 s3, s15, s29
	s_ashr_i32 s6, s4, 31
	v_lshl_add_u32 v1, s3, 8, v0
	s_lshr_b32 s2, s6, 28
	s_delay_alu instid0(SALU_CYCLE_1) | instskip(SKIP_1) | instid1(SALU_CYCLE_1)
	s_add_u32 s2, s5, s2
	s_addc_u32 s3, s4, 0
	s_ashr_i64 s[4:5], s[2:3], 4
	s_mov_b32 s3, 0
	v_cmpx_gt_i64_e64 s[4:5], v[1:2]
	s_cbranch_execz .LBB42_4
; %bb.2:
	s_load_b32 s2, s[0:1], 0x90
	v_lshlrev_b64 v[7:8], 4, v[1:2]
	v_dual_mov_b32 v6, v2 :: v_dual_mov_b32 v5, v1
	v_mov_b32_e32 v1, v2
	v_mov_b32_e32 v3, v2
	;; [unrolled: 1-line block ×3, first 2 shown]
	v_add_co_u32 v7, vcc_lo, s48, v7
	v_add_co_ci_u32_e32 v8, vcc_lo, s49, v8, vcc_lo
	s_mov_b32 s11, 0
	s_waitcnt lgkmcnt(0)
	s_sub_i32 s2, s2, s29
	s_delay_alu instid0(SALU_CYCLE_1) | instskip(NEXT) | instid1(SALU_CYCLE_1)
	s_lshl_b32 s6, s2, 8
	s_ashr_i32 s7, s6, 31
	s_delay_alu instid0(SALU_CYCLE_1)
	s_lshl_b64 s[8:9], s[6:7], 4
.LBB42_3:                               ; =>This Inner Loop Header: Depth=1
	v_add_co_u32 v5, vcc_lo, v5, s6
	v_add_co_ci_u32_e32 v6, vcc_lo, s7, v6, vcc_lo
	global_store_b128 v[7:8], v[1:4], off
	v_add_co_u32 v7, s2, v7, s8
	v_cmp_le_i64_e32 vcc_lo, s[4:5], v[5:6]
	v_add_co_ci_u32_e64 v8, s2, s9, v8, s2
	s_or_b32 s11, vcc_lo, s11
	s_delay_alu instid0(SALU_CYCLE_1)
	s_and_not1_b32 exec_lo, exec_lo, s11
	s_cbranch_execnz .LBB42_3
.LBB42_4:
	s_or_b32 exec_lo, exec_lo, s10
.LBB42_5:
	s_delay_alu instid0(SALU_CYCLE_1)
	s_and_not1_b32 vcc_lo, exec_lo, s3
	s_cbranch_vccnz .LBB42_77
; %bb.6:
	s_load_b128 s[24:27], s[0:1], 0x70
	s_lshl_b32 s2, s29, 2
	v_lshrrev_b32_e32 v7, 5, v0
	s_add_i32 s13, s2, 0
	v_and_b32_e32 v8, 31, v0
	s_addk_i32 s13, 0x50
	s_cmp_lt_i32 s29, 1
	s_mov_b32 s14, 0
	s_cbranch_scc1 .LBB42_22
; %bb.7:
	v_mbcnt_lo_u32_b32 v1, -1, 0
	s_add_i32 s9, s29, 0xff
	s_add_i32 s16, s31, -1
	s_lshr_b32 s17, s9, 8
	s_cmp_lg_u64 s[50:51], 0
	v_dual_mov_b32 v11, 0 :: v_dual_lshlrev_b32 v2, 2, v1
	v_cmp_eq_u32_e64 s2, 31, v8
	v_lshl_add_u32 v6, v7, 2, 0
	v_cmp_gt_u32_e64 s3, 32, v0
	s_delay_alu instid0(VALU_DEP_4)
	v_dual_mov_b32 v5, 0 :: v_dual_and_b32 v2, 64, v2
	v_cmp_lt_u32_e64 s4, 63, v0
	v_cmp_lt_u32_e64 s5, 0x5f, v0
	;; [unrolled: 1-line block ×6, first 2 shown]
	v_dual_mov_b32 v10, 0 :: v_dual_add_nc_u32 v9, -4, v2
	v_cmp_lt_u32_e64 s10, 0xdf, v0
	v_cmp_eq_u32_e64 s11, 0xff, v0
	v_mov_b32_e32 v2, 0
	s_cselect_b32 s18, -1, 0
	s_cmp_eq_u32 s15, 0
	s_cselect_b32 s19, -1, 0
	s_add_i32 s20, s13, 4
.LBB42_8:                               ; =>This Loop Header: Depth=1
                                        ;     Child Loop BB42_19 Depth 2
	v_lshl_add_u32 v3, s14, 8, v0
	v_mov_b32_e32 v1, 0
	s_delay_alu instid0(VALU_DEP_2)
	v_cmp_gt_i32_e32 vcc_lo, s29, v3
	s_and_saveexec_b32 s21, vcc_lo
	s_cbranch_execz .LBB42_10
; %bb.9:                                ;   in Loop: Header=BB42_8 Depth=1
	v_ashrrev_i32_e32 v4, 31, v3
	s_delay_alu instid0(VALU_DEP_1) | instskip(NEXT) | instid1(VALU_DEP_1)
	v_lshlrev_b64 v[12:13], 2, v[3:4]
	v_add_co_u32 v12, s12, s38, v12
	s_delay_alu instid0(VALU_DEP_1)
	v_add_co_ci_u32_e64 v13, s12, s39, v13, s12
	global_load_b32 v1, v[12:13], off
.LBB42_10:                              ;   in Loop: Header=BB42_8 Depth=1
	s_or_b32 exec_lo, exec_lo, s21
	s_waitcnt vmcnt(0)
	v_add_nc_u32_e32 v1, s16, v1
	v_mov_b32_dpp v15, v11 row_shr:1 row_mask:0xf bank_mask:0xf bound_ctrl:1
	s_waitcnt lgkmcnt(0)
	s_waitcnt_vscnt null, 0x0
	s_barrier
	buffer_gl0_inv
	v_mul_hi_u32 v4, v1, s24
	v_add_nc_u32_dpp v16, v15, v15 row_shr:2 row_mask:0xf bank_mask:0xf bound_ctrl:1
	s_delay_alu instid0(VALU_DEP_1) | instskip(NEXT) | instid1(VALU_DEP_3)
	v_add_nc_u32_dpp v16, v16, v16 row_shr:4 row_mask:0xf bank_mask:0xf bound_ctrl:1
	v_add_nc_u32_e32 v1, v1, v4
	s_delay_alu instid0(VALU_DEP_2) | instskip(NEXT) | instid1(VALU_DEP_2)
	v_add_nc_u32_dpp v17, v16, v16 row_shr:8 row_mask:0xf bank_mask:0xf bound_ctrl:1
	v_lshrrev_b32_e32 v12, s25, v1
	ds_bpermute_b32 v18, v9, v17
	v_mov_b32_dpp v4, v12 row_shr:1 row_mask:0xf bank_mask:0xf bound_ctrl:1
	s_delay_alu instid0(VALU_DEP_1) | instskip(NEXT) | instid1(VALU_DEP_1)
	v_add_nc_u32_e32 v1, v12, v4
	v_mov_b32_dpp v13, v1 row_shr:2 row_mask:0xf bank_mask:0xf bound_ctrl:1
	s_delay_alu instid0(VALU_DEP_1) | instskip(SKIP_2) | instid1(VALU_DEP_2)
	v_add_nc_u32_e32 v1, v1, v13
	s_waitcnt lgkmcnt(0)
	v_cndmask_b32_e64 v18, 0, v18, s9
	v_mov_b32_dpp v14, v1 row_shr:4 row_mask:0xf bank_mask:0xf bound_ctrl:1
	s_delay_alu instid0(VALU_DEP_1) | instskip(NEXT) | instid1(VALU_DEP_1)
	v_add_nc_u32_e32 v1, v1, v14
	v_mov_b32_dpp v15, v1 row_shr:8 row_mask:0xf bank_mask:0xf bound_ctrl:1
	s_delay_alu instid0(VALU_DEP_1) | instskip(SKIP_3) | instid1(VALU_DEP_1)
	v_add_nc_u32_e32 v1, v1, v15
	ds_bpermute_b32 v16, v9, v1
	s_waitcnt lgkmcnt(0)
	v_cndmask_b32_e64 v16, 0, v16, s9
	v_add_nc_u32_e32 v20, v1, v16
	v_add_nc_u32_e32 v1, v18, v17
	s_and_saveexec_b32 s12, s2
	s_cbranch_execz .LBB42_12
; %bb.11:                               ;   in Loop: Header=BB42_8 Depth=1
	ds_store_2addr_b32 v6, v20, v1 offset0:4 offset1:12
.LBB42_12:                              ;   in Loop: Header=BB42_8 Depth=1
	s_or_b32 exec_lo, exec_lo, s12
	s_waitcnt lgkmcnt(0)
	s_barrier
	buffer_gl0_inv
	ds_load_2addr_b32 v[17:18], v10 offset0:4 offset1:5
	ds_load_2addr_b32 v[21:22], v10 offset0:6 offset1:7
	;; [unrolled: 1-line block ×3, first 2 shown]
	ds_load_b32 v25, v10 offset:40
	s_waitcnt lgkmcnt(3)
	v_cndmask_b32_e64 v17, v17, 0, s3
	v_cndmask_b32_e64 v18, 0, v18, s4
	s_waitcnt lgkmcnt(2)
	v_cndmask_b32_e64 v19, 0, v21, s5
	s_waitcnt lgkmcnt(1)
	;; [unrolled: 2-line block ×3, first 2 shown]
	v_cndmask_b32_e64 v23, 0, v25, s10
	v_add3_u32 v26, v20, v5, v17
	v_cndmask_b32_e64 v20, 0, v22, s6
	v_cndmask_b32_e64 v22, 0, v24, s8
	s_delay_alu instid0(VALU_DEP_3) | instskip(NEXT) | instid1(VALU_DEP_1)
	v_add3_u32 v26, v26, v18, v19
	v_add3_u32 v24, v26, v20, v21
	s_delay_alu instid0(VALU_DEP_1)
	v_add3_u32 v24, v24, v22, v23
	s_and_saveexec_b32 s12, s11
	s_cbranch_execz .LBB42_14
; %bb.13:                               ;   in Loop: Header=BB42_8 Depth=1
	ds_load_2addr_b32 v[25:26], v10 offset0:16 offset1:17
	ds_load_b32 v31, v10 offset:72
	ds_load_2addr_b32 v[27:28], v10 offset0:14 offset1:15
	ds_load_2addr_b32 v[29:30], v10 offset0:12 offset1:13
	s_waitcnt lgkmcnt(2)
	v_add_nc_u32_e32 v26, v31, v26
	s_delay_alu instid0(VALU_DEP_1) | instskip(SKIP_1) | instid1(VALU_DEP_1)
	v_add_nc_u32_e32 v25, v26, v25
	s_waitcnt lgkmcnt(1)
	v_add_nc_u32_e32 v25, v25, v28
	s_delay_alu instid0(VALU_DEP_1) | instskip(SKIP_1) | instid1(VALU_DEP_1)
	v_add_nc_u32_e32 v25, v25, v27
	s_waitcnt lgkmcnt(0)
	v_add_nc_u32_e32 v25, v25, v30
	s_delay_alu instid0(VALU_DEP_1) | instskip(NEXT) | instid1(VALU_DEP_1)
	v_add_nc_u32_e32 v25, v25, v29
	v_add3_u32 v1, v25, v2, v1
	ds_store_2addr_b32 v10, v24, v1 offset0:2 offset1:3
.LBB42_14:                              ;   in Loop: Header=BB42_8 Depth=1
	s_or_b32 exec_lo, exec_lo, s12
	s_waitcnt lgkmcnt(0)
	s_barrier
	buffer_gl0_inv
	ds_load_2addr_b32 v[1:2], v10 offset0:2 offset1:3
	s_and_saveexec_b32 s12, vcc_lo
	s_cbranch_execz .LBB42_17
; %bb.15:                               ;   in Loop: Header=BB42_8 Depth=1
	v_sub_nc_u32_e32 v24, v24, v12
	v_lshl_add_u32 v25, v3, 2, 0
	s_and_not1_b32 vcc_lo, exec_lo, s18
	s_delay_alu instid0(VALU_DEP_2)
	v_mul_lo_u32 v24, v24, s31
	ds_store_b32 v25, v24 offset:80
	s_cbranch_vccnz .LBB42_17
; %bb.16:                               ;   in Loop: Header=BB42_8 Depth=1
	v_lshl_add_u32 v24, v3, 2, s20
	ds_store_b32 v24, v3
.LBB42_17:                              ;   in Loop: Header=BB42_8 Depth=1
	s_or_b32 exec_lo, exec_lo, s12
	v_cmp_lt_i32_e32 vcc_lo, 0, v12
	s_and_b32 s12, s19, vcc_lo
	s_delay_alu instid0(SALU_CYCLE_1)
	s_and_saveexec_b32 s21, s12
	s_cbranch_execz .LBB42_20
; %bb.18:                               ;   in Loop: Header=BB42_8 Depth=1
	v_add3_u32 v16, v16, v18, v19
	s_mov_b32 s22, 0
	s_delay_alu instid0(VALU_DEP_1) | instskip(NEXT) | instid1(VALU_DEP_1)
	v_add3_u32 v16, v16, v20, v21
	v_add3_u32 v16, v16, v22, v23
	s_delay_alu instid0(VALU_DEP_1) | instskip(NEXT) | instid1(VALU_DEP_1)
	v_add3_u32 v4, v16, v17, v4
	v_add3_u32 v4, v4, v13, v14
	s_delay_alu instid0(VALU_DEP_1)
	v_add3_u32 v4, v4, v15, v5
.LBB42_19:                              ;   Parent Loop BB42_8 Depth=1
                                        ; =>  This Inner Loop Header: Depth=2
	s_delay_alu instid0(VALU_DEP_1) | instskip(SKIP_1) | instid1(VALU_DEP_2)
	v_ashrrev_i32_e32 v5, 31, v4
	v_add_nc_u32_e32 v12, -1, v12
	v_lshlrev_b64 v[13:14], 2, v[4:5]
	s_delay_alu instid0(VALU_DEP_2) | instskip(SKIP_2) | instid1(VALU_DEP_3)
	v_cmp_eq_u32_e32 vcc_lo, 0, v12
	v_add_nc_u32_e32 v4, 1, v4
	s_or_b32 s22, vcc_lo, s22
	v_add_co_u32 v13, s12, s42, v13
	s_delay_alu instid0(VALU_DEP_1)
	v_add_co_ci_u32_e64 v14, s12, s43, v14, s12
	global_store_b32 v[13:14], v3, off
	s_and_not1_b32 exec_lo, exec_lo, s22
	s_cbranch_execnz .LBB42_19
.LBB42_20:                              ;   in Loop: Header=BB42_8 Depth=1
	s_or_b32 exec_lo, exec_lo, s21
	s_add_i32 s14, s14, 1
	s_delay_alu instid0(SALU_CYCLE_1)
	s_cmp_eq_u32 s14, s17
	s_cbranch_scc1 .LBB42_23
; %bb.21:                               ;   in Loop: Header=BB42_8 Depth=1
	s_waitcnt lgkmcnt(0)
	v_mov_b32_e32 v5, v1
	s_branch .LBB42_8
.LBB42_22:
	v_mov_b32_e32 v1, 0
.LBB42_23:
	s_load_b128 s[52:55], s[0:1], 0x0
	s_mov_b32 s0, exec_lo
	v_cmpx_eq_u32_e32 0, v0
	s_cbranch_execz .LBB42_27
; %bb.24:
	s_waitcnt lgkmcnt(0)
	v_mul_lo_u32 v1, v1, s31
	s_cmp_lg_u32 s15, 0
	s_cbranch_scc1 .LBB42_26
; %bb.25:
	v_dual_mov_b32 v3, 0 :: v_dual_mov_b32 v2, s28
	global_store_b64 v3, v[1:2], s[40:41]
.LBB42_26:
	v_mov_b32_e32 v2, s13
	ds_store_b32 v2, v1
.LBB42_27:
	s_or_b32 exec_lo, exec_lo, s0
	s_cmp_eq_u64 s[50:51], 0
	s_waitcnt lgkmcnt(0)
	s_waitcnt_vscnt null, 0x0
	s_cselect_b32 s0, -1, 0
	s_cmp_lg_u32 s15, 0
	s_barrier
	s_cselect_b32 s1, -1, 0
	buffer_gl0_inv
	s_or_b32 s0, s1, s0
	s_delay_alu instid0(SALU_CYCLE_1)
	s_and_b32 vcc_lo, exec_lo, s0
	s_cbranch_vccnz .LBB42_32
; %bb.28:
	s_mul_i32 s1, s26, s28
	s_mov_b32 s2, exec_lo
	v_cmpx_gt_i32_e64 s1, v0
	s_cbranch_execz .LBB42_31
; %bb.29:
	v_lshlrev_b32_e32 v3, 2, v0
	v_mov_b32_e32 v5, v0
	s_mov_b32 s3, 0
	s_delay_alu instid0(VALU_DEP_2) | instskip(NEXT) | instid1(VALU_DEP_1)
	v_add_co_u32 v1, s0, s52, v3
	v_add_co_ci_u32_e64 v2, null, s53, 0, s0
	v_add_co_u32 v3, s0, s50, v3
	s_delay_alu instid0(VALU_DEP_1)
	v_add_co_ci_u32_e64 v4, null, s51, 0, s0
	.p2align	6
.LBB42_30:                              ; =>This Inner Loop Header: Depth=1
	global_load_b32 v6, v[1:2], off
	v_add_nc_u32_e32 v5, 0x100, v5
	v_add_co_u32 v1, vcc_lo, 0x400, v1
	v_add_co_ci_u32_e32 v2, vcc_lo, 0, v2, vcc_lo
	s_delay_alu instid0(VALU_DEP_3) | instskip(SKIP_4) | instid1(VALU_DEP_1)
	v_cmp_le_i32_e32 vcc_lo, s1, v5
	s_or_b32 s3, vcc_lo, s3
	s_waitcnt vmcnt(0)
	v_max_i32_e32 v9, -1, v6
	v_cmp_gt_i32_e64 s0, s29, v6
	v_cndmask_b32_e64 v6, -1, v9, s0
	global_store_b32 v[3:4], v6, off
	v_add_co_u32 v3, s0, 0x400, v3
	s_delay_alu instid0(VALU_DEP_1)
	v_add_co_ci_u32_e64 v4, s0, 0, v4, s0
	s_and_not1_b32 exec_lo, exec_lo, s3
	s_cbranch_execnz .LBB42_30
.LBB42_31:
	s_or_b32 exec_lo, exec_lo, s2
.LBB42_32:
	s_lshl_b32 s0, s15, 2
	s_delay_alu instid0(SALU_CYCLE_1) | instskip(NEXT) | instid1(SALU_CYCLE_1)
	s_add_i32 s0, s0, 0
	v_mov_b32_e32 v1, s0
	ds_load_2addr_b32 v[5:6], v1 offset0:20 offset1:21
	s_waitcnt lgkmcnt(0)
	v_cmp_eq_u32_e32 vcc_lo, v5, v6
	s_cbranch_vccnz .LBB42_77
; %bb.33:
	v_mov_b32_e32 v33, 0
	s_cmp_lt_i32 s30, 16
	s_cbranch_scc1 .LBB42_74
; %bb.34:
	v_mbcnt_lo_u32_b32 v1, -1, 0
	v_lshlrev_b32_e32 v29, 4, v0
	s_lshr_b32 s0, s30, 4
	v_lshl_add_u32 v28, v7, 2, 0
	s_addk_i32 s0, 0xff
	v_dual_mov_b32 v9, 0 :: v_dual_lshlrev_b32 v2, 2, v1
	v_cmp_lt_u32_e32 vcc_lo, 15, v1
	v_or_b32_e32 v1, 15, v29
	s_lshr_b32 s27, s0, 8
	s_delay_alu instid0(VALU_DEP_3) | instskip(SKIP_1) | instid1(VALU_DEP_3)
	v_dual_mov_b32 v33, 0 :: v_dual_and_b32 v2, 64, v2
	v_cmp_eq_u32_e64 s0, 31, v8
	v_mad_u64_u32 v[7:8], null, s26, v1, -1
	s_delay_alu instid0(VALU_DEP_3)
	v_dual_mov_b32 v32, v0 :: v_dual_add_nc_u32 v27, -4, v2
	v_or_b32_e32 v2, 14, v29
	v_or_b32_e32 v1, 13, v29
	;; [unrolled: 1-line block ×3, first 2 shown]
	s_add_i32 s1, s28, 15
	v_mul_lo_u32 v4, s26, v29
	v_mad_u64_u32 v[10:11], null, s26, v2, -1
	v_or_b32_e32 v2, 12, v29
	v_mad_u64_u32 v[11:12], null, s26, v1, -1
	v_or_b32_e32 v1, 11, v29
	s_ashr_i32 s3, s1, 31
	s_delay_alu instid0(VALU_DEP_3) | instskip(SKIP_1) | instid1(VALU_DEP_3)
	v_mad_u64_u32 v[12:13], null, s26, v2, -1
	v_or_b32_e32 v2, 10, v29
	v_mad_u64_u32 v[13:14], null, s26, v1, -1
	v_or_b32_e32 v1, 9, v29
	v_mul_lo_u32 v8, v0, s26
	s_delay_alu instid0(VALU_DEP_4) | instskip(SKIP_1) | instid1(VALU_DEP_4)
	v_mad_u64_u32 v[14:15], null, s26, v2, -1
	v_or_b32_e32 v2, 8, v29
	v_mad_u64_u32 v[15:16], null, s26, v1, -1
	v_or_b32_e32 v1, 7, v29
	s_lshr_b32 s3, s3, 28
	s_delay_alu instid0(VALU_DEP_3) | instskip(SKIP_1) | instid1(VALU_DEP_3)
	v_mad_u64_u32 v[16:17], null, s26, v2, -1
	v_or_b32_e32 v2, 6, v29
	v_mad_u64_u32 v[17:18], null, s26, v1, -1
	v_or_b32_e32 v1, 4, v29
	s_mul_i32 s2, s30, s15
	s_delay_alu instid0(VALU_DEP_3)
	v_mad_u64_u32 v[18:19], null, s26, v2, -1
	v_or_b32_e32 v2, 3, v29
	v_mad_u64_u32 v[19:20], null, s26, v3, -1
	v_or_b32_e32 v3, 2, v29
	v_mad_u64_u32 v[20:21], null, s26, v1, -1
	s_add_i32 s1, s1, s3
	v_mad_u64_u32 v[21:22], null, s26, v2, -1
	s_delay_alu instid0(VALU_DEP_3)
	v_mad_u64_u32 v[22:23], null, s26, v3, -1
	s_ashr_i32 s4, s2, 31
	s_ashr_i32 s29, s1, 4
	s_add_u32 s33, s36, s2
	s_addc_u32 s34, s37, s4
	v_cmp_gt_u32_e64 s1, 32, v0
	v_cmp_lt_u32_e64 s2, 63, v0
	v_cmp_lt_u32_e64 s3, 0x5f, v0
	;; [unrolled: 1-line block ×6, first 2 shown]
	v_cmp_eq_u32_e64 s8, 0xff, v0
	v_add3_u32 v30, v4, s26, -1
	v_lshl_add_u32 v31, v8, 4, -1
	s_mov_b32 s35, 0
	s_lshl_b32 s36, s26, 12
	s_mov_b64 s[30:31], 0
	s_branch .LBB42_36
.LBB42_35:                              ;   in Loop: Header=BB42_36 Depth=1
	s_or_b32 exec_lo, exec_lo, s10
	s_add_i32 s35, s35, s36
	s_add_u32 s30, s30, 0x1000
	s_addc_u32 s31, s31, 0
	s_add_i32 s27, s27, -1
	v_add_nc_u32_e32 v32, 0x100, v32
	s_add_u32 s33, s33, 0x1000
	s_addc_u32 s34, s34, 0
	s_cmp_eq_u32 s27, 0
	s_cbranch_scc1 .LBB42_74
.LBB42_36:                              ; =>This Inner Loop Header: Depth=1
	v_dual_mov_b32 v1, 0 :: v_dual_mov_b32 v2, 0
	v_dual_mov_b32 v3, 0 :: v_dual_mov_b32 v4, 0
	s_mov_b32 s10, exec_lo
	v_cmpx_gt_i32_e64 s29, v32
	s_cbranch_execz .LBB42_38
; %bb.37:                               ;   in Loop: Header=BB42_36 Depth=1
	v_add_co_u32 v1, s9, s33, v29
	s_delay_alu instid0(VALU_DEP_1)
	v_add_co_ci_u32_e64 v2, null, s34, 0, s9
	global_load_b128 v[1:4], v[1:2], off
.LBB42_38:                              ;   in Loop: Header=BB42_36 Depth=1
	s_or_b32 exec_lo, exec_lo, s10
	s_waitcnt vmcnt(0)
	v_lshrrev_b32_e32 v53, 8, v1
	v_lshrrev_b32_e32 v51, 16, v1
	v_lshrrev_b64 v[25:26], 24, v[1:2]
	v_and_b32_e32 v8, 0xff, v1
	v_lshrrev_b32_e32 v44, 16, v2
	v_and_b32_e32 v54, 0xff, v53
	v_and_b32_e32 v52, 0xff, v51
	v_lshrrev_b32_e32 v47, 8, v2
	v_and_b32_e32 v50, 0xff, v25
	v_cmp_ne_u16_e64 s24, 0, v8
	v_cmp_ne_u16_e64 s23, 0, v54
	;; [unrolled: 1-line block ×3, first 2 shown]
	v_and_b32_e32 v49, 0xff, v2
	v_and_b32_e32 v48, 0xff, v47
	v_cmp_ne_u16_e64 s21, 0, v50
	v_cndmask_b32_e64 v23, 0, 1, s23
	v_cndmask_b32_e64 v24, 0, 1, s22
	v_cmp_ne_u16_e64 s20, 0, v49
	v_and_b32_e32 v46, 0xff, v44
	v_cmp_ne_u16_e64 s19, 0, v48
	v_add_co_ci_u32_e64 v23, s9, 0, v23, s24
	v_lshrrev_b32_e32 v45, 24, v2
	s_delay_alu instid0(VALU_DEP_4) | instskip(SKIP_1) | instid1(VALU_DEP_4)
	v_cmp_ne_u16_e64 s18, 0, v46
	v_lshrrev_b32_e32 v41, 8, v3
	v_add_co_ci_u32_e64 v23, s9, v23, v24, s21
	v_cndmask_b32_e64 v24, 0, 1, s20
	v_cmp_ne_u16_e64 s17, 0, v45
	v_and_b32_e32 v43, 0xff, v3
	v_lshrrev_b32_e32 v39, 16, v3
	v_and_b32_e32 v42, 0xff, v41
	v_add_co_ci_u32_e64 v23, s9, v23, v24, s19
	v_cndmask_b32_e64 v24, 0, 1, s18
	v_cmp_ne_u16_e64 s16, 0, v43
	v_and_b32_e32 v40, 0xff, v39
	v_cmp_ne_u16_e64 s15, 0, v42
	v_lshrrev_b32_e32 v35, 8, v4
	v_add_co_ci_u32_e64 v26, s9, v23, v24, s17
	v_lshrrev_b64 v[23:24], 24, v[3:4]
	v_cndmask_b32_e64 v34, 0, 1, s16
	v_cmp_ne_u16_e64 s14, 0, v40
	v_and_b32_e32 v37, 0xff, v4
	v_lshrrev_b32_e32 v24, 16, v4
	v_and_b32_e32 v36, 0xff, v35
	v_and_b32_e32 v38, 0xff, v23
	v_add_co_ci_u32_e64 v26, s9, v26, v34, s15
	v_cndmask_b32_e64 v34, 0, 1, s14
	v_cmp_ne_u16_e64 s12, 0, v37
	s_delay_alu instid0(VALU_DEP_4)
	v_cmp_ne_u16_e64 s13, 0, v38
	v_cmp_ne_u16_e64 s11, 0, v36
	s_waitcnt_vscnt null, 0x0
	s_waitcnt lgkmcnt(0)
	s_barrier
	v_cndmask_b32_e64 v55, 0, 1, s12
	v_add_co_ci_u32_e64 v26, s9, v26, v34, s13
	v_and_b32_e32 v34, 0xff, v24
	buffer_gl0_inv
	v_add_co_ci_u32_e64 v55, s9, v26, v55, s11
	v_lshrrev_b32_e32 v26, 24, v4
	v_cmp_ne_u16_e64 s10, 0, v34
	s_delay_alu instid0(VALU_DEP_2) | instskip(NEXT) | instid1(VALU_DEP_2)
	v_cmp_ne_u16_e64 s9, 0, v26
	v_cndmask_b32_e64 v56, 0, 1, s10
	s_delay_alu instid0(VALU_DEP_1) | instskip(NEXT) | instid1(VALU_DEP_1)
	v_add_co_ci_u32_e64 v55, s25, v55, v56, s9
	v_add_nc_u32_dpp v56, v55, v55 row_shr:1 row_mask:0xf bank_mask:0xf bound_ctrl:1
	s_delay_alu instid0(VALU_DEP_1) | instskip(NEXT) | instid1(VALU_DEP_1)
	v_add_nc_u32_dpp v56, v56, v56 row_shr:2 row_mask:0xf bank_mask:0xf bound_ctrl:1
	v_add_nc_u32_dpp v56, v56, v56 row_shr:4 row_mask:0xf bank_mask:0xf bound_ctrl:1
	s_delay_alu instid0(VALU_DEP_1) | instskip(SKIP_3) | instid1(VALU_DEP_1)
	v_add_nc_u32_dpp v56, v56, v56 row_shr:8 row_mask:0xf bank_mask:0xf bound_ctrl:1
	ds_bpermute_b32 v57, v27, v56
	s_waitcnt lgkmcnt(0)
	v_cndmask_b32_e32 v57, 0, v57, vcc_lo
	v_add_nc_u32_e32 v56, v56, v57
	s_and_saveexec_b32 s25, s0
	s_cbranch_execz .LBB42_40
; %bb.39:                               ;   in Loop: Header=BB42_36 Depth=1
	ds_store_b32 v28, v56 offset:16
.LBB42_40:                              ;   in Loop: Header=BB42_36 Depth=1
	s_or_b32 exec_lo, exec_lo, s25
	s_waitcnt lgkmcnt(0)
	s_barrier
	buffer_gl0_inv
	ds_load_2addr_b32 v[57:58], v9 offset0:4 offset1:5
	ds_load_2addr_b32 v[59:60], v9 offset0:6 offset1:7
	;; [unrolled: 1-line block ×3, first 2 shown]
	ds_load_b32 v63, v9 offset:40
	s_waitcnt lgkmcnt(3)
	v_cndmask_b32_e64 v57, v57, 0, s1
	v_cndmask_b32_e64 v58, 0, v58, s2
	s_waitcnt lgkmcnt(2)
	v_cndmask_b32_e64 v59, 0, v59, s3
	s_delay_alu instid0(VALU_DEP_3) | instskip(SKIP_3) | instid1(VALU_DEP_3)
	v_add3_u32 v33, v56, v33, v57
	v_cndmask_b32_e64 v56, 0, v60, s4
	s_waitcnt lgkmcnt(1)
	v_cndmask_b32_e64 v57, 0, v61, s5
	v_add3_u32 v33, v33, v58, v59
	v_cndmask_b32_e64 v58, 0, v62, s6
	s_waitcnt lgkmcnt(0)
	v_cndmask_b32_e64 v59, 0, v63, s7
	s_delay_alu instid0(VALU_DEP_3) | instskip(NEXT) | instid1(VALU_DEP_1)
	v_add3_u32 v33, v33, v56, v57
	v_add3_u32 v56, v33, v58, v59
	s_and_saveexec_b32 s25, s8
	s_cbranch_execz .LBB42_42
; %bb.41:                               ;   in Loop: Header=BB42_36 Depth=1
	ds_store_b32 v9, v56
.LBB42_42:                              ;   in Loop: Header=BB42_36 Depth=1
	s_or_b32 exec_lo, exec_lo, s25
	s_waitcnt lgkmcnt(0)
	s_barrier
	buffer_gl0_inv
	ds_load_b32 v33, v9
	v_sub_nc_u32_e32 v56, v56, v55
	v_mov_b32_e32 v55, 0
	v_mov_b32_e32 v57, 0
	s_and_saveexec_b32 s25, s24
	s_cbranch_execz .LBB42_44
; %bb.43:                               ;   in Loop: Header=BB42_36 Depth=1
	v_add3_u32 v8, v31, s35, v8
	s_delay_alu instid0(VALU_DEP_1) | instskip(NEXT) | instid1(VALU_DEP_1)
	v_lshlrev_b64 v[57:58], 2, v[8:9]
	v_add_co_u32 v57, s24, s54, v57
	s_delay_alu instid0(VALU_DEP_1) | instskip(SKIP_3) | instid1(VALU_DEP_2)
	v_add_co_ci_u32_e64 v58, s24, s55, v58, s24
	global_load_b32 v8, v[57:58], off
	v_add_nc_u32_e32 v58, s30, v29
	v_add_nc_u32_e32 v57, v56, v5
	v_and_b32_e32 v59, 0xfffff0, v58
	s_delay_alu instid0(VALU_DEP_2) | instskip(NEXT) | instid1(VALU_DEP_2)
	v_ashrrev_i32_e32 v58, 31, v57
	v_lshl_or_b32 v1, v1, 24, v59
	s_delay_alu instid0(VALU_DEP_2) | instskip(NEXT) | instid1(VALU_DEP_2)
	v_lshlrev_b64 v[57:58], 2, v[57:58]
	v_add_nc_u32_e32 v1, 0xff000000, v1
	s_delay_alu instid0(VALU_DEP_2) | instskip(NEXT) | instid1(VALU_DEP_1)
	v_add_co_u32 v59, s24, s44, v57
	v_add_co_ci_u32_e64 v60, s24, s45, v58, s24
	v_add_co_u32 v61, s24, s46, v57
	v_mov_b32_e32 v57, 1
	v_add_co_ci_u32_e64 v62, s24, s47, v58, s24
	global_store_b32 v[59:60], v1, off
	s_waitcnt vmcnt(0)
	global_store_b32 v[61:62], v8, off
.LBB42_44:                              ;   in Loop: Header=BB42_36 Depth=1
	s_or_b32 exec_lo, exec_lo, s25
	s_delay_alu instid0(VALU_DEP_1)
	v_add_nc_u32_e32 v1, v57, v56
	s_and_saveexec_b32 s24, s23
	s_cbranch_execz .LBB42_46
; %bb.45:                               ;   in Loop: Header=BB42_36 Depth=1
	v_add3_u32 v8, v30, s35, v54
	s_delay_alu instid0(VALU_DEP_1) | instskip(NEXT) | instid1(VALU_DEP_1)
	v_lshlrev_b64 v[54:55], 2, v[8:9]
	v_add_co_u32 v54, s23, s54, v54
	s_delay_alu instid0(VALU_DEP_1) | instskip(SKIP_3) | instid1(VALU_DEP_2)
	v_add_co_ci_u32_e64 v55, s23, s55, v55, s23
	global_load_b32 v8, v[54:55], off
	v_add3_u32 v55, v29, s30, 1
	v_add_nc_u32_e32 v54, v1, v5
	v_and_b32_e32 v56, 0xfffff1, v55
	s_delay_alu instid0(VALU_DEP_2) | instskip(NEXT) | instid1(VALU_DEP_2)
	v_ashrrev_i32_e32 v55, 31, v54
	v_lshl_or_b32 v56, v53, 24, v56
	s_delay_alu instid0(VALU_DEP_2) | instskip(NEXT) | instid1(VALU_DEP_2)
	v_lshlrev_b64 v[53:54], 2, v[54:55]
	v_dual_mov_b32 v55, 1 :: v_dual_add_nc_u32 v58, 0xff000000, v56
	s_delay_alu instid0(VALU_DEP_2) | instskip(NEXT) | instid1(VALU_DEP_1)
	v_add_co_u32 v56, s23, s44, v53
	v_add_co_ci_u32_e64 v57, s23, s45, v54, s23
	v_add_co_u32 v53, s23, s46, v53
	s_delay_alu instid0(VALU_DEP_1)
	v_add_co_ci_u32_e64 v54, s23, s47, v54, s23
	global_store_b32 v[56:57], v58, off
	s_waitcnt vmcnt(0)
	global_store_b32 v[53:54], v8, off
.LBB42_46:                              ;   in Loop: Header=BB42_36 Depth=1
	s_or_b32 exec_lo, exec_lo, s24
	s_delay_alu instid0(VALU_DEP_1)
	v_dual_mov_b32 v8, 0 :: v_dual_add_nc_u32 v53, v55, v1
	v_mov_b32_e32 v1, 0
	s_and_saveexec_b32 s23, s22
	s_cbranch_execz .LBB42_48
; %bb.47:                               ;   in Loop: Header=BB42_36 Depth=1
	v_add3_u32 v8, v22, s35, v52
	s_delay_alu instid0(VALU_DEP_1) | instskip(SKIP_1) | instid1(VALU_DEP_1)
	v_lshlrev_b64 v[54:55], 2, v[8:9]
	v_add3_u32 v8, v29, s30, 2
	v_and_b32_e32 v8, 0xfffff2, v8
	s_delay_alu instid0(VALU_DEP_3) | instskip(NEXT) | instid1(VALU_DEP_1)
	v_add_co_u32 v54, s22, s54, v54
	v_add_co_ci_u32_e64 v55, s22, s55, v55, s22
	s_delay_alu instid0(VALU_DEP_3) | instskip(SKIP_3) | instid1(VALU_DEP_2)
	v_lshl_or_b32 v8, v51, 24, v8
	global_load_b32 v56, v[54:55], off
	v_add_nc_u32_e32 v54, v53, v5
	v_dual_mov_b32 v8, 1 :: v_dual_add_nc_u32 v57, 0xff000000, v8
	v_ashrrev_i32_e32 v55, 31, v54
	s_delay_alu instid0(VALU_DEP_1) | instskip(NEXT) | instid1(VALU_DEP_1)
	v_lshlrev_b64 v[51:52], 2, v[54:55]
	v_add_co_u32 v54, s22, s44, v51
	s_delay_alu instid0(VALU_DEP_1) | instskip(SKIP_1) | instid1(VALU_DEP_1)
	v_add_co_ci_u32_e64 v55, s22, s45, v52, s22
	v_add_co_u32 v51, s22, s46, v51
	v_add_co_ci_u32_e64 v52, s22, s47, v52, s22
	global_store_b32 v[54:55], v57, off
	s_waitcnt vmcnt(0)
	global_store_b32 v[51:52], v56, off
.LBB42_48:                              ;   in Loop: Header=BB42_36 Depth=1
	s_or_b32 exec_lo, exec_lo, s23
	v_add_nc_u32_e32 v51, v8, v53
	s_and_saveexec_b32 s22, s21
	s_cbranch_execz .LBB42_50
; %bb.49:                               ;   in Loop: Header=BB42_36 Depth=1
	v_add3_u32 v8, v21, s35, v50
	v_add3_u32 v1, v29, s30, 3
	s_delay_alu instid0(VALU_DEP_2) | instskip(NEXT) | instid1(VALU_DEP_2)
	v_lshlrev_b64 v[52:53], 2, v[8:9]
	v_and_b32_e32 v1, 0xfffff3, v1
	s_delay_alu instid0(VALU_DEP_1) | instskip(NEXT) | instid1(VALU_DEP_3)
	v_lshl_or_b32 v1, v25, 24, v1
	v_add_co_u32 v52, s21, s54, v52
	s_delay_alu instid0(VALU_DEP_1) | instskip(NEXT) | instid1(VALU_DEP_3)
	v_add_co_ci_u32_e64 v53, s21, s55, v53, s21
	v_add_nc_u32_e32 v25, 0xff000000, v1
	v_mov_b32_e32 v1, 1
	global_load_b32 v8, v[52:53], off
	v_add_nc_u32_e32 v52, v51, v5
	s_delay_alu instid0(VALU_DEP_1) | instskip(NEXT) | instid1(VALU_DEP_1)
	v_ashrrev_i32_e32 v53, 31, v52
	v_lshlrev_b64 v[52:53], 2, v[52:53]
	s_delay_alu instid0(VALU_DEP_1) | instskip(NEXT) | instid1(VALU_DEP_1)
	v_add_co_u32 v54, s21, s44, v52
	v_add_co_ci_u32_e64 v55, s21, s45, v53, s21
	v_add_co_u32 v52, s21, s46, v52
	s_delay_alu instid0(VALU_DEP_1)
	v_add_co_ci_u32_e64 v53, s21, s47, v53, s21
	global_store_b32 v[54:55], v25, off
	s_waitcnt vmcnt(0)
	global_store_b32 v[52:53], v8, off
.LBB42_50:                              ;   in Loop: Header=BB42_36 Depth=1
	s_or_b32 exec_lo, exec_lo, s22
	s_delay_alu instid0(VALU_DEP_1)
	v_dual_mov_b32 v8, 0 :: v_dual_add_nc_u32 v25, v1, v51
	v_mov_b32_e32 v1, 0
	s_and_saveexec_b32 s21, s20
	s_cbranch_execz .LBB42_52
; %bb.51:                               ;   in Loop: Header=BB42_36 Depth=1
	v_add3_u32 v8, v20, s35, v49
	s_delay_alu instid0(VALU_DEP_1) | instskip(SKIP_1) | instid1(VALU_DEP_1)
	v_lshlrev_b64 v[49:50], 2, v[8:9]
	v_add3_u32 v8, v29, s30, 4
	v_and_b32_e32 v8, 0xfffff4, v8
	s_delay_alu instid0(VALU_DEP_3) | instskip(NEXT) | instid1(VALU_DEP_1)
	v_add_co_u32 v49, s20, s54, v49
	v_add_co_ci_u32_e64 v50, s20, s55, v50, s20
	s_delay_alu instid0(VALU_DEP_3) | instskip(SKIP_4) | instid1(VALU_DEP_2)
	v_lshl_or_b32 v2, v2, 24, v8
	v_mov_b32_e32 v8, 1
	global_load_b32 v53, v[49:50], off
	v_add_nc_u32_e32 v49, v25, v5
	v_add_nc_u32_e32 v2, 0xff000000, v2
	v_ashrrev_i32_e32 v50, 31, v49
	s_delay_alu instid0(VALU_DEP_1) | instskip(NEXT) | instid1(VALU_DEP_1)
	v_lshlrev_b64 v[49:50], 2, v[49:50]
	v_add_co_u32 v51, s20, s44, v49
	s_delay_alu instid0(VALU_DEP_1) | instskip(SKIP_1) | instid1(VALU_DEP_1)
	v_add_co_ci_u32_e64 v52, s20, s45, v50, s20
	v_add_co_u32 v49, s20, s46, v49
	v_add_co_ci_u32_e64 v50, s20, s47, v50, s20
	global_store_b32 v[51:52], v2, off
	s_waitcnt vmcnt(0)
	global_store_b32 v[49:50], v53, off
.LBB42_52:                              ;   in Loop: Header=BB42_36 Depth=1
	s_or_b32 exec_lo, exec_lo, s21
	v_add_nc_u32_e32 v2, v8, v25
	s_and_saveexec_b32 s20, s19
	s_cbranch_execz .LBB42_54
; %bb.53:                               ;   in Loop: Header=BB42_36 Depth=1
	v_add3_u32 v8, v19, s35, v48
	v_add3_u32 v1, v29, s30, 5
	s_delay_alu instid0(VALU_DEP_2) | instskip(NEXT) | instid1(VALU_DEP_2)
	v_lshlrev_b64 v[48:49], 2, v[8:9]
	v_and_b32_e32 v1, 0xfffff5, v1
	s_delay_alu instid0(VALU_DEP_1) | instskip(NEXT) | instid1(VALU_DEP_3)
	v_lshl_or_b32 v1, v47, 24, v1
	v_add_co_u32 v48, s19, s54, v48
	s_delay_alu instid0(VALU_DEP_1) | instskip(NEXT) | instid1(VALU_DEP_3)
	v_add_co_ci_u32_e64 v49, s19, s55, v49, s19
	v_add_nc_u32_e32 v25, 0xff000000, v1
	v_mov_b32_e32 v1, 1
	global_load_b32 v8, v[48:49], off
	v_add_nc_u32_e32 v48, v2, v5
	s_delay_alu instid0(VALU_DEP_1) | instskip(NEXT) | instid1(VALU_DEP_1)
	v_ashrrev_i32_e32 v49, 31, v48
	v_lshlrev_b64 v[47:48], 2, v[48:49]
	s_delay_alu instid0(VALU_DEP_1) | instskip(NEXT) | instid1(VALU_DEP_1)
	v_add_co_u32 v49, s19, s44, v47
	v_add_co_ci_u32_e64 v50, s19, s45, v48, s19
	v_add_co_u32 v47, s19, s46, v47
	s_delay_alu instid0(VALU_DEP_1)
	v_add_co_ci_u32_e64 v48, s19, s47, v48, s19
	global_store_b32 v[49:50], v25, off
	s_waitcnt vmcnt(0)
	global_store_b32 v[47:48], v8, off
.LBB42_54:                              ;   in Loop: Header=BB42_36 Depth=1
	s_or_b32 exec_lo, exec_lo, s20
	s_delay_alu instid0(VALU_DEP_1)
	v_dual_mov_b32 v1, 0 :: v_dual_add_nc_u32 v2, v1, v2
	v_mov_b32_e32 v8, 0
	s_and_saveexec_b32 s19, s18
	s_cbranch_execz .LBB42_56
; %bb.55:                               ;   in Loop: Header=BB42_36 Depth=1
	v_add3_u32 v8, v18, s35, v46
	s_delay_alu instid0(VALU_DEP_1) | instskip(SKIP_1) | instid1(VALU_DEP_1)
	v_lshlrev_b64 v[46:47], 2, v[8:9]
	v_add3_u32 v8, v29, s30, 6
	v_and_b32_e32 v8, 0xfffff6, v8
	s_delay_alu instid0(VALU_DEP_3) | instskip(NEXT) | instid1(VALU_DEP_1)
	v_add_co_u32 v46, s18, s54, v46
	v_add_co_ci_u32_e64 v47, s18, s55, v47, s18
	s_delay_alu instid0(VALU_DEP_3) | instskip(SKIP_4) | instid1(VALU_DEP_3)
	v_lshl_or_b32 v8, v44, 24, v8
	global_load_b32 v25, v[46:47], off
	v_add_nc_u32_e32 v46, v2, v5
	v_add_nc_u32_e32 v44, 0xff000000, v8
	v_mov_b32_e32 v8, 1
	v_ashrrev_i32_e32 v47, 31, v46
	s_delay_alu instid0(VALU_DEP_1) | instskip(NEXT) | instid1(VALU_DEP_1)
	v_lshlrev_b64 v[46:47], 2, v[46:47]
	v_add_co_u32 v48, s18, s44, v46
	s_delay_alu instid0(VALU_DEP_1) | instskip(SKIP_1) | instid1(VALU_DEP_1)
	v_add_co_ci_u32_e64 v49, s18, s45, v47, s18
	v_add_co_u32 v46, s18, s46, v46
	v_add_co_ci_u32_e64 v47, s18, s47, v47, s18
	global_store_b32 v[48:49], v44, off
	s_waitcnt vmcnt(0)
	global_store_b32 v[46:47], v25, off
.LBB42_56:                              ;   in Loop: Header=BB42_36 Depth=1
	s_or_b32 exec_lo, exec_lo, s19
	s_delay_alu instid0(VALU_DEP_1)
	v_add_nc_u32_e32 v2, v8, v2
	s_and_saveexec_b32 s18, s17
	s_cbranch_execz .LBB42_58
; %bb.57:                               ;   in Loop: Header=BB42_36 Depth=1
	v_and_b32_e32 v1, 0xffff, v45
	v_add3_u32 v25, v29, s30, 7
	s_delay_alu instid0(VALU_DEP_2) | instskip(NEXT) | instid1(VALU_DEP_2)
	v_add3_u32 v8, v17, s35, v1
	v_and_b32_e32 v25, 0xfffff7, v25
	s_delay_alu instid0(VALU_DEP_2) | instskip(NEXT) | instid1(VALU_DEP_2)
	v_lshlrev_b64 v[44:45], 2, v[8:9]
	v_lshl_or_b32 v1, v1, 24, v25
	s_delay_alu instid0(VALU_DEP_1) | instskip(NEXT) | instid1(VALU_DEP_3)
	v_add_nc_u32_e32 v25, 0xff000000, v1
	v_add_co_u32 v44, s17, s54, v44
	s_delay_alu instid0(VALU_DEP_1) | instskip(SKIP_3) | instid1(VALU_DEP_1)
	v_add_co_ci_u32_e64 v45, s17, s55, v45, s17
	v_mov_b32_e32 v1, 1
	global_load_b32 v8, v[44:45], off
	v_add_nc_u32_e32 v44, v2, v5
	v_ashrrev_i32_e32 v45, 31, v44
	s_delay_alu instid0(VALU_DEP_1) | instskip(NEXT) | instid1(VALU_DEP_1)
	v_lshlrev_b64 v[44:45], 2, v[44:45]
	v_add_co_u32 v46, s17, s44, v44
	s_delay_alu instid0(VALU_DEP_1) | instskip(SKIP_1) | instid1(VALU_DEP_1)
	v_add_co_ci_u32_e64 v47, s17, s45, v45, s17
	v_add_co_u32 v44, s17, s46, v44
	v_add_co_ci_u32_e64 v45, s17, s47, v45, s17
	global_store_b32 v[46:47], v25, off
	s_waitcnt vmcnt(0)
	global_store_b32 v[44:45], v8, off
.LBB42_58:                              ;   in Loop: Header=BB42_36 Depth=1
	s_or_b32 exec_lo, exec_lo, s18
	s_delay_alu instid0(VALU_DEP_1)
	v_dual_mov_b32 v1, 0 :: v_dual_add_nc_u32 v2, v1, v2
	v_mov_b32_e32 v8, 0
	s_and_saveexec_b32 s17, s16
	s_cbranch_execz .LBB42_60
; %bb.59:                               ;   in Loop: Header=BB42_36 Depth=1
	v_add3_u32 v8, v16, s35, v43
	s_delay_alu instid0(VALU_DEP_1) | instskip(SKIP_1) | instid1(VALU_DEP_1)
	v_lshlrev_b64 v[43:44], 2, v[8:9]
	v_add3_u32 v8, v29, s30, 8
	v_and_b32_e32 v8, 0xfffff8, v8
	s_delay_alu instid0(VALU_DEP_3) | instskip(NEXT) | instid1(VALU_DEP_1)
	v_add_co_u32 v43, s16, s54, v43
	v_add_co_ci_u32_e64 v44, s16, s55, v44, s16
	s_delay_alu instid0(VALU_DEP_3) | instskip(SKIP_4) | instid1(VALU_DEP_2)
	v_lshl_or_b32 v3, v3, 24, v8
	v_mov_b32_e32 v8, 1
	global_load_b32 v25, v[43:44], off
	v_add_nc_u32_e32 v43, v2, v5
	v_add_nc_u32_e32 v3, 0xff000000, v3
	v_ashrrev_i32_e32 v44, 31, v43
	s_delay_alu instid0(VALU_DEP_1) | instskip(NEXT) | instid1(VALU_DEP_1)
	v_lshlrev_b64 v[43:44], 2, v[43:44]
	v_add_co_u32 v45, s16, s44, v43
	s_delay_alu instid0(VALU_DEP_1) | instskip(SKIP_1) | instid1(VALU_DEP_1)
	v_add_co_ci_u32_e64 v46, s16, s45, v44, s16
	v_add_co_u32 v43, s16, s46, v43
	v_add_co_ci_u32_e64 v44, s16, s47, v44, s16
	global_store_b32 v[45:46], v3, off
	s_waitcnt vmcnt(0)
	global_store_b32 v[43:44], v25, off
.LBB42_60:                              ;   in Loop: Header=BB42_36 Depth=1
	s_or_b32 exec_lo, exec_lo, s17
	s_delay_alu instid0(VALU_DEP_1)
	v_add_nc_u32_e32 v2, v8, v2
	s_and_saveexec_b32 s16, s15
	s_cbranch_execz .LBB42_62
; %bb.61:                               ;   in Loop: Header=BB42_36 Depth=1
	v_add3_u32 v8, v15, s35, v42
	v_add3_u32 v1, v29, s30, 9
	s_delay_alu instid0(VALU_DEP_2) | instskip(NEXT) | instid1(VALU_DEP_2)
	v_lshlrev_b64 v[42:43], 2, v[8:9]
	v_and_b32_e32 v1, 0xfffff9, v1
	s_delay_alu instid0(VALU_DEP_1) | instskip(NEXT) | instid1(VALU_DEP_3)
	v_lshl_or_b32 v1, v41, 24, v1
	v_add_co_u32 v42, s15, s54, v42
	s_delay_alu instid0(VALU_DEP_1) | instskip(NEXT) | instid1(VALU_DEP_3)
	v_add_co_ci_u32_e64 v43, s15, s55, v43, s15
	v_dual_mov_b32 v1, 1 :: v_dual_add_nc_u32 v8, 0xff000000, v1
	global_load_b32 v3, v[42:43], off
	v_add_nc_u32_e32 v42, v2, v5
	s_delay_alu instid0(VALU_DEP_1) | instskip(NEXT) | instid1(VALU_DEP_1)
	v_ashrrev_i32_e32 v43, 31, v42
	v_lshlrev_b64 v[41:42], 2, v[42:43]
	s_delay_alu instid0(VALU_DEP_1) | instskip(NEXT) | instid1(VALU_DEP_1)
	v_add_co_u32 v43, s15, s44, v41
	v_add_co_ci_u32_e64 v44, s15, s45, v42, s15
	v_add_co_u32 v41, s15, s46, v41
	s_delay_alu instid0(VALU_DEP_1)
	v_add_co_ci_u32_e64 v42, s15, s47, v42, s15
	global_store_b32 v[43:44], v8, off
	s_waitcnt vmcnt(0)
	global_store_b32 v[41:42], v3, off
.LBB42_62:                              ;   in Loop: Header=BB42_36 Depth=1
	s_or_b32 exec_lo, exec_lo, s16
	s_delay_alu instid0(VALU_DEP_1)
	v_dual_mov_b32 v1, 0 :: v_dual_add_nc_u32 v2, v1, v2
	v_mov_b32_e32 v3, 0
	s_and_saveexec_b32 s15, s14
	s_cbranch_execz .LBB42_64
; %bb.63:                               ;   in Loop: Header=BB42_36 Depth=1
	v_add3_u32 v8, v14, s35, v40
	v_add3_u32 v3, v29, s30, 10
	s_delay_alu instid0(VALU_DEP_2) | instskip(NEXT) | instid1(VALU_DEP_2)
	v_lshlrev_b64 v[40:41], 2, v[8:9]
	v_and_b32_e32 v3, 0xfffffa, v3
	s_delay_alu instid0(VALU_DEP_1) | instskip(NEXT) | instid1(VALU_DEP_3)
	v_lshl_or_b32 v3, v39, 24, v3
	v_add_co_u32 v40, s14, s54, v40
	s_delay_alu instid0(VALU_DEP_1) | instskip(NEXT) | instid1(VALU_DEP_3)
	v_add_co_ci_u32_e64 v41, s14, s55, v41, s14
	v_add_nc_u32_e32 v25, 0xff000000, v3
	v_mov_b32_e32 v3, 1
	global_load_b32 v8, v[40:41], off
	v_add_nc_u32_e32 v40, v2, v5
	s_delay_alu instid0(VALU_DEP_1) | instskip(NEXT) | instid1(VALU_DEP_1)
	v_ashrrev_i32_e32 v41, 31, v40
	v_lshlrev_b64 v[39:40], 2, v[40:41]
	s_delay_alu instid0(VALU_DEP_1) | instskip(NEXT) | instid1(VALU_DEP_1)
	v_add_co_u32 v41, s14, s44, v39
	v_add_co_ci_u32_e64 v42, s14, s45, v40, s14
	v_add_co_u32 v39, s14, s46, v39
	s_delay_alu instid0(VALU_DEP_1)
	v_add_co_ci_u32_e64 v40, s14, s47, v40, s14
	global_store_b32 v[41:42], v25, off
	s_waitcnt vmcnt(0)
	global_store_b32 v[39:40], v8, off
.LBB42_64:                              ;   in Loop: Header=BB42_36 Depth=1
	s_or_b32 exec_lo, exec_lo, s15
	s_delay_alu instid0(VALU_DEP_1)
	v_add_nc_u32_e32 v2, v3, v2
	s_and_saveexec_b32 s14, s13
	s_cbranch_execz .LBB42_66
; %bb.65:                               ;   in Loop: Header=BB42_36 Depth=1
	v_add3_u32 v8, v13, s35, v38
	v_add3_u32 v1, v29, s30, 11
	s_delay_alu instid0(VALU_DEP_2) | instskip(NEXT) | instid1(VALU_DEP_2)
	v_lshlrev_b64 v[38:39], 2, v[8:9]
	v_and_b32_e32 v1, 0xfffffb, v1
	s_delay_alu instid0(VALU_DEP_1) | instskip(NEXT) | instid1(VALU_DEP_3)
	v_lshl_or_b32 v1, v23, 24, v1
	v_add_co_u32 v38, s13, s54, v38
	s_delay_alu instid0(VALU_DEP_1) | instskip(NEXT) | instid1(VALU_DEP_3)
	v_add_co_ci_u32_e64 v39, s13, s55, v39, s13
	v_dual_mov_b32 v1, 1 :: v_dual_add_nc_u32 v8, 0xff000000, v1
	global_load_b32 v3, v[38:39], off
	v_add_nc_u32_e32 v38, v2, v5
	s_delay_alu instid0(VALU_DEP_1) | instskip(NEXT) | instid1(VALU_DEP_1)
	v_ashrrev_i32_e32 v39, 31, v38
	v_lshlrev_b64 v[38:39], 2, v[38:39]
	s_delay_alu instid0(VALU_DEP_1) | instskip(NEXT) | instid1(VALU_DEP_1)
	v_add_co_u32 v40, s13, s44, v38
	v_add_co_ci_u32_e64 v41, s13, s45, v39, s13
	v_add_co_u32 v38, s13, s46, v38
	s_delay_alu instid0(VALU_DEP_1)
	v_add_co_ci_u32_e64 v39, s13, s47, v39, s13
	global_store_b32 v[40:41], v8, off
	s_waitcnt vmcnt(0)
	global_store_b32 v[38:39], v3, off
.LBB42_66:                              ;   in Loop: Header=BB42_36 Depth=1
	s_or_b32 exec_lo, exec_lo, s14
	s_delay_alu instid0(VALU_DEP_1)
	v_dual_mov_b32 v1, 0 :: v_dual_add_nc_u32 v2, v1, v2
	v_mov_b32_e32 v3, 0
	s_and_saveexec_b32 s13, s12
	s_cbranch_execz .LBB42_68
; %bb.67:                               ;   in Loop: Header=BB42_36 Depth=1
	v_add3_u32 v8, v12, s35, v37
	v_add3_u32 v3, v29, s30, 12
	s_delay_alu instid0(VALU_DEP_2) | instskip(NEXT) | instid1(VALU_DEP_2)
	v_lshlrev_b64 v[37:38], 2, v[8:9]
	v_and_b32_e32 v3, 0xfffffc, v3
	s_delay_alu instid0(VALU_DEP_1) | instskip(NEXT) | instid1(VALU_DEP_3)
	v_lshl_or_b32 v23, v4, 24, v3
	v_add_co_u32 v37, s12, s54, v37
	s_delay_alu instid0(VALU_DEP_1) | instskip(NEXT) | instid1(VALU_DEP_3)
	v_add_co_ci_u32_e64 v38, s12, s55, v38, s12
	v_add_nc_u32_e32 v23, 0xff000000, v23
	global_load_b32 v8, v[37:38], off
	v_add_nc_u32_e32 v37, v2, v5
	s_delay_alu instid0(VALU_DEP_1) | instskip(NEXT) | instid1(VALU_DEP_1)
	v_ashrrev_i32_e32 v38, 31, v37
	v_lshlrev_b64 v[3:4], 2, v[37:38]
	s_delay_alu instid0(VALU_DEP_1) | instskip(NEXT) | instid1(VALU_DEP_1)
	v_add_co_u32 v37, s12, s44, v3
	v_add_co_ci_u32_e64 v38, s12, s45, v4, s12
	v_add_co_u32 v39, s12, s46, v3
	v_mov_b32_e32 v3, 1
	v_add_co_ci_u32_e64 v40, s12, s47, v4, s12
	global_store_b32 v[37:38], v23, off
	s_waitcnt vmcnt(0)
	global_store_b32 v[39:40], v8, off
.LBB42_68:                              ;   in Loop: Header=BB42_36 Depth=1
	s_or_b32 exec_lo, exec_lo, s13
	s_delay_alu instid0(VALU_DEP_1)
	v_add_nc_u32_e32 v2, v3, v2
	s_and_saveexec_b32 s12, s11
	s_cbranch_execz .LBB42_70
; %bb.69:                               ;   in Loop: Header=BB42_36 Depth=1
	v_add3_u32 v8, v11, s35, v36
	v_add3_u32 v1, v29, s30, 13
	s_delay_alu instid0(VALU_DEP_2) | instskip(NEXT) | instid1(VALU_DEP_2)
	v_lshlrev_b64 v[3:4], 2, v[8:9]
	v_and_b32_e32 v1, 0xfffffd, v1
	s_delay_alu instid0(VALU_DEP_1) | instskip(NEXT) | instid1(VALU_DEP_3)
	v_lshl_or_b32 v1, v35, 24, v1
	v_add_co_u32 v3, s11, s54, v3
	s_delay_alu instid0(VALU_DEP_1) | instskip(NEXT) | instid1(VALU_DEP_3)
	v_add_co_ci_u32_e64 v4, s11, s55, v4, s11
	v_add_nc_u32_e32 v23, 0xff000000, v1
	v_mov_b32_e32 v1, 1
	global_load_b32 v8, v[3:4], off
	v_add_nc_u32_e32 v3, v2, v5
	s_delay_alu instid0(VALU_DEP_1) | instskip(NEXT) | instid1(VALU_DEP_1)
	v_ashrrev_i32_e32 v4, 31, v3
	v_lshlrev_b64 v[3:4], 2, v[3:4]
	s_delay_alu instid0(VALU_DEP_1) | instskip(NEXT) | instid1(VALU_DEP_1)
	v_add_co_u32 v35, s11, s44, v3
	v_add_co_ci_u32_e64 v36, s11, s45, v4, s11
	v_add_co_u32 v3, s11, s46, v3
	s_delay_alu instid0(VALU_DEP_1)
	v_add_co_ci_u32_e64 v4, s11, s47, v4, s11
	global_store_b32 v[35:36], v23, off
	s_waitcnt vmcnt(0)
	global_store_b32 v[3:4], v8, off
.LBB42_70:                              ;   in Loop: Header=BB42_36 Depth=1
	s_or_b32 exec_lo, exec_lo, s12
	s_delay_alu instid0(VALU_DEP_1)
	v_dual_mov_b32 v2, 0 :: v_dual_add_nc_u32 v1, v1, v2
	s_and_saveexec_b32 s11, s10
	s_cbranch_execz .LBB42_72
; %bb.71:                               ;   in Loop: Header=BB42_36 Depth=1
	v_add3_u32 v8, v10, s35, v34
	s_delay_alu instid0(VALU_DEP_1) | instskip(NEXT) | instid1(VALU_DEP_1)
	v_lshlrev_b64 v[2:3], 2, v[8:9]
	v_add_co_u32 v2, s10, s54, v2
	s_delay_alu instid0(VALU_DEP_1) | instskip(SKIP_3) | instid1(VALU_DEP_2)
	v_add_co_ci_u32_e64 v3, s10, s55, v3, s10
	global_load_b32 v4, v[2:3], off
	v_add3_u32 v3, v29, s30, 14
	v_add_nc_u32_e32 v2, v1, v5
	v_and_b32_e32 v8, 0xfffffe, v3
	s_delay_alu instid0(VALU_DEP_2) | instskip(NEXT) | instid1(VALU_DEP_2)
	v_ashrrev_i32_e32 v3, 31, v2
	v_lshl_or_b32 v8, v24, 24, v8
	s_delay_alu instid0(VALU_DEP_2) | instskip(NEXT) | instid1(VALU_DEP_2)
	v_lshlrev_b64 v[2:3], 2, v[2:3]
	v_add_nc_u32_e32 v8, 0xff000000, v8
	s_delay_alu instid0(VALU_DEP_2) | instskip(NEXT) | instid1(VALU_DEP_1)
	v_add_co_u32 v23, s10, s44, v2
	v_add_co_ci_u32_e64 v24, s10, s45, v3, s10
	v_add_co_u32 v34, s10, s46, v2
	v_mov_b32_e32 v2, 1
	v_add_co_ci_u32_e64 v35, s10, s47, v3, s10
	global_store_b32 v[23:24], v8, off
	s_waitcnt vmcnt(0)
	global_store_b32 v[34:35], v4, off
.LBB42_72:                              ;   in Loop: Header=BB42_36 Depth=1
	s_or_b32 exec_lo, exec_lo, s11
	s_and_saveexec_b32 s10, s9
	s_cbranch_execz .LBB42_35
; %bb.73:                               ;   in Loop: Header=BB42_36 Depth=1
	v_and_b32_e32 v23, 0xffff, v26
	v_add3_u32 v1, v1, v5, v2
	s_delay_alu instid0(VALU_DEP_2) | instskip(NEXT) | instid1(VALU_DEP_2)
	v_add3_u32 v8, v7, s35, v23
	v_ashrrev_i32_e32 v2, 31, v1
	s_delay_alu instid0(VALU_DEP_2) | instskip(NEXT) | instid1(VALU_DEP_2)
	v_lshlrev_b64 v[3:4], 2, v[8:9]
	v_lshlrev_b64 v[1:2], 2, v[1:2]
	s_delay_alu instid0(VALU_DEP_2) | instskip(NEXT) | instid1(VALU_DEP_1)
	v_add_co_u32 v3, s9, s54, v3
	v_add_co_ci_u32_e64 v4, s9, s55, v4, s9
	global_load_b32 v8, v[3:4], off
	v_add_nc_u32_e32 v3, -1, v23
	v_add3_u32 v4, v29, s30, 15
	s_delay_alu instid0(VALU_DEP_1) | instskip(SKIP_1) | instid1(VALU_DEP_1)
	v_perm_b32 v23, v3, v4, 0x4020100
	v_add_co_u32 v3, s9, s44, v1
	v_add_co_ci_u32_e64 v4, s9, s45, v2, s9
	v_add_co_u32 v1, s9, s46, v1
	s_delay_alu instid0(VALU_DEP_1)
	v_add_co_ci_u32_e64 v2, s9, s47, v2, s9
	global_store_b32 v[3:4], v23, off
	s_waitcnt vmcnt(0)
	global_store_b32 v[1:2], v8, off
	s_branch .LBB42_35
.LBB42_74:
	s_waitcnt lgkmcnt(0)
	s_delay_alu instid0(VALU_DEP_1) | instskip(SKIP_1) | instid1(VALU_DEP_1)
	v_add3_u32 v0, v33, v5, v0
	s_mov_b32 s0, exec_lo
	v_cmpx_lt_i32_e64 v0, v6
	s_cbranch_execz .LBB42_77
; %bb.75:
	v_ashrrev_i32_e32 v1, 31, v0
	s_and_b32 s0, s28, 0xffffff
	s_lshl_b32 s1, s26, 24
	v_mov_b32_e32 v7, 0
	s_or_b32 s0, s1, s0
	v_lshlrev_b64 v[3:4], 2, v[0:1]
	v_mov_b32_e32 v5, s0
	s_mov_b32 s1, 0
	s_delay_alu instid0(VALU_DEP_2) | instskip(NEXT) | instid1(VALU_DEP_3)
	v_add_co_u32 v1, vcc_lo, s44, v3
	v_add_co_ci_u32_e32 v2, vcc_lo, s45, v4, vcc_lo
	v_add_co_u32 v3, vcc_lo, s46, v3
	v_add_co_ci_u32_e32 v4, vcc_lo, s47, v4, vcc_lo
	.p2align	6
.LBB42_76:                              ; =>This Inner Loop Header: Depth=1
	v_add_nc_u32_e32 v0, 0x100, v0
	global_store_b32 v[1:2], v5, off
	global_store_b32 v[3:4], v7, off
	v_add_co_u32 v1, vcc_lo, 0x400, v1
	v_add_co_ci_u32_e32 v2, vcc_lo, 0, v2, vcc_lo
	v_cmp_ge_i32_e32 vcc_lo, v0, v6
	v_add_co_u32 v3, s0, 0x400, v3
	s_delay_alu instid0(VALU_DEP_1) | instskip(SKIP_1) | instid1(SALU_CYCLE_1)
	v_add_co_ci_u32_e64 v4, s0, 0, v4, s0
	s_or_b32 s1, vcc_lo, s1
	s_and_not1_b32 exec_lo, exec_lo, s1
	s_cbranch_execnz .LBB42_76
.LBB42_77:
	s_nop 0
	s_sendmsg sendmsg(MSG_DEALLOC_VGPRS)
	s_endpgm
	.section	.rodata,"a",@progbits
	.p2align	6, 0x0
	.amdhsa_kernel _ZN5aiter22opus_moe_sorting_entryINS_30MoeSortingMultiPhaseKernel_P23INS_19MoeSortingProblemMpIifhLi16ELb0ELb0ELb1EEEEENS4_5KargsEEEvT0_
		.amdhsa_group_segment_fixed_size 0
		.amdhsa_private_segment_fixed_size 0
		.amdhsa_kernarg_size 400
		.amdhsa_user_sgpr_count 15
		.amdhsa_user_sgpr_dispatch_ptr 0
		.amdhsa_user_sgpr_queue_ptr 0
		.amdhsa_user_sgpr_kernarg_segment_ptr 1
		.amdhsa_user_sgpr_dispatch_id 0
		.amdhsa_user_sgpr_private_segment_size 0
		.amdhsa_wavefront_size32 1
		.amdhsa_uses_dynamic_stack 0
		.amdhsa_enable_private_segment 0
		.amdhsa_system_sgpr_workgroup_id_x 1
		.amdhsa_system_sgpr_workgroup_id_y 0
		.amdhsa_system_sgpr_workgroup_id_z 0
		.amdhsa_system_sgpr_workgroup_info 0
		.amdhsa_system_vgpr_workitem_id 0
		.amdhsa_next_free_vgpr 64
		.amdhsa_next_free_sgpr 56
		.amdhsa_reserve_vcc 1
		.amdhsa_float_round_mode_32 0
		.amdhsa_float_round_mode_16_64 0
		.amdhsa_float_denorm_mode_32 3
		.amdhsa_float_denorm_mode_16_64 3
		.amdhsa_dx10_clamp 1
		.amdhsa_ieee_mode 1
		.amdhsa_fp16_overflow 0
		.amdhsa_workgroup_processor_mode 1
		.amdhsa_memory_ordered 1
		.amdhsa_forward_progress 0
		.amdhsa_shared_vgpr_count 0
		.amdhsa_exception_fp_ieee_invalid_op 0
		.amdhsa_exception_fp_denorm_src 0
		.amdhsa_exception_fp_ieee_div_zero 0
		.amdhsa_exception_fp_ieee_overflow 0
		.amdhsa_exception_fp_ieee_underflow 0
		.amdhsa_exception_fp_ieee_inexact 0
		.amdhsa_exception_int_div_zero 0
	.end_amdhsa_kernel
	.section	.text._ZN5aiter22opus_moe_sorting_entryINS_30MoeSortingMultiPhaseKernel_P23INS_19MoeSortingProblemMpIifhLi16ELb0ELb0ELb1EEEEENS4_5KargsEEEvT0_,"axG",@progbits,_ZN5aiter22opus_moe_sorting_entryINS_30MoeSortingMultiPhaseKernel_P23INS_19MoeSortingProblemMpIifhLi16ELb0ELb0ELb1EEEEENS4_5KargsEEEvT0_,comdat
.Lfunc_end42:
	.size	_ZN5aiter22opus_moe_sorting_entryINS_30MoeSortingMultiPhaseKernel_P23INS_19MoeSortingProblemMpIifhLi16ELb0ELb0ELb1EEEEENS4_5KargsEEEvT0_, .Lfunc_end42-_ZN5aiter22opus_moe_sorting_entryINS_30MoeSortingMultiPhaseKernel_P23INS_19MoeSortingProblemMpIifhLi16ELb0ELb0ELb1EEEEENS4_5KargsEEEvT0_
                                        ; -- End function
	.section	.AMDGPU.csdata,"",@progbits
; Kernel info:
; codeLenInByte = 6236
; NumSgprs: 58
; NumVgprs: 64
; ScratchSize: 0
; MemoryBound: 0
; FloatMode: 240
; IeeeMode: 1
; LDSByteSize: 0 bytes/workgroup (compile time only)
; SGPRBlocks: 7
; VGPRBlocks: 7
; NumSGPRsForWavesPerEU: 58
; NumVGPRsForWavesPerEU: 64
; Occupancy: 16
; WaveLimiterHint : 0
; COMPUTE_PGM_RSRC2:SCRATCH_EN: 0
; COMPUTE_PGM_RSRC2:USER_SGPR: 15
; COMPUTE_PGM_RSRC2:TRAP_HANDLER: 0
; COMPUTE_PGM_RSRC2:TGID_X_EN: 1
; COMPUTE_PGM_RSRC2:TGID_Y_EN: 0
; COMPUTE_PGM_RSRC2:TGID_Z_EN: 0
; COMPUTE_PGM_RSRC2:TIDIG_COMP_CNT: 0
	.section	.text._ZN5aiter22opus_moe_sorting_entryINS_32MoeSortingMultiPhaseKernel_P0_v2INS_19MoeSortingProblemMpIifhLi1ELb1ELb1ELb1EEEEENS4_5KargsEEEvT0_,"axG",@progbits,_ZN5aiter22opus_moe_sorting_entryINS_32MoeSortingMultiPhaseKernel_P0_v2INS_19MoeSortingProblemMpIifhLi1ELb1ELb1ELb1EEEEENS4_5KargsEEEvT0_,comdat
	.protected	_ZN5aiter22opus_moe_sorting_entryINS_32MoeSortingMultiPhaseKernel_P0_v2INS_19MoeSortingProblemMpIifhLi1ELb1ELb1ELb1EEEEENS4_5KargsEEEvT0_ ; -- Begin function _ZN5aiter22opus_moe_sorting_entryINS_32MoeSortingMultiPhaseKernel_P0_v2INS_19MoeSortingProblemMpIifhLi1ELb1ELb1ELb1EEEEENS4_5KargsEEEvT0_
	.globl	_ZN5aiter22opus_moe_sorting_entryINS_32MoeSortingMultiPhaseKernel_P0_v2INS_19MoeSortingProblemMpIifhLi1ELb1ELb1ELb1EEEEENS4_5KargsEEEvT0_
	.p2align	8
	.type	_ZN5aiter22opus_moe_sorting_entryINS_32MoeSortingMultiPhaseKernel_P0_v2INS_19MoeSortingProblemMpIifhLi1ELb1ELb1ELb1EEEEENS4_5KargsEEEvT0_,@function
_ZN5aiter22opus_moe_sorting_entryINS_32MoeSortingMultiPhaseKernel_P0_v2INS_19MoeSortingProblemMpIifhLi1ELb1ELb1ELb1EEEEENS4_5KargsEEEvT0_: ; @_ZN5aiter22opus_moe_sorting_entryINS_32MoeSortingMultiPhaseKernel_P0_v2INS_19MoeSortingProblemMpIifhLi1ELb1ELb1ELb1EEEEENS4_5KargsEEEvT0_
; %bb.0:
	s_mov_b32 s16, s15
	s_clause 0x1
	s_load_b128 s[12:15], s[0:1], 0x0
	s_load_b64 s[18:19], s[0:1], 0x10
	s_ashr_i32 s17, s16, 31
	s_waitcnt lgkmcnt(0)
	s_load_b32 s14, s[14:15], 0x0
	s_load_b256 s[4:11], s[0:1], 0x20
	s_lshl_b64 s[2:3], s[16:17], 2
	s_waitcnt lgkmcnt(0)
	s_add_i32 s0, s14, 31
	s_delay_alu instid0(SALU_CYCLE_1) | instskip(NEXT) | instid1(SALU_CYCLE_1)
	s_ashr_i32 s1, s0, 31
	s_lshr_b32 s1, s1, 27
	s_delay_alu instid0(SALU_CYCLE_1) | instskip(NEXT) | instid1(SALU_CYCLE_1)
	s_add_i32 s7, s0, s1
	s_and_not1_b32 s7, s7, 31
	s_add_u32 s0, s8, s2
	s_addc_u32 s1, s9, s3
	s_load_b32 s15, s[0:1], 0x0
	s_mul_i32 s0, s7, s16
	s_delay_alu instid0(SALU_CYCLE_1)
	s_ashr_i32 s1, s0, 31
	s_add_u32 s8, s18, s0
	s_addc_u32 s9, s19, s1
	s_mov_b32 s1, exec_lo
	v_cmpx_gt_i32_e64 s7, v0
	s_cbranch_execz .LBB43_8
; %bb.1:
	v_xad_u32 v2, v0, -1, s7
	v_mov_b32_e32 v1, v0
	s_mov_b32 s17, -1
	s_mov_b32 s0, exec_lo
	s_delay_alu instid0(VALU_DEP_2)
	v_cmpx_lt_u32_e32 0xdff, v2
	s_cbranch_execz .LBB43_5
; %bb.2:
	v_lshrrev_b32_e32 v1, 9, v2
	v_add_nc_u32_e32 v3, 0x600, v0
	v_or_b32_e32 v2, 0x400, v0
	s_mov_b32 s17, 0
	v_mov_b32_e32 v7, 0
	v_add_nc_u32_e32 v5, 1, v1
	v_add_nc_u32_e32 v1, 0x200, v0
	v_mov_b32_e32 v4, v3
	v_mov_b32_e32 v3, v2
	s_delay_alu instid0(VALU_DEP_3) | instskip(SKIP_1) | instid1(VALU_DEP_1)
	v_mov_b32_e32 v2, v1
	v_dual_mov_b32 v1, v0 :: v_dual_and_b32 v6, 0xfffff8, v5
	v_mov_b32_e32 v8, v6
.LBB43_3:                               ; =>This Inner Loop Header: Depth=1
	s_delay_alu instid0(VALU_DEP_2) | instskip(NEXT) | instid1(VALU_DEP_1)
	v_add_co_u32 v9, s18, s8, v1
	v_add_co_ci_u32_e64 v10, null, s9, 0, s18
	v_add_co_u32 v11, s18, s8, v2
	v_add_nc_u32_e32 v17, 0x800, v1
	v_add_co_ci_u32_e64 v12, null, s9, 0, s18
	v_add_co_u32 v13, s18, s8, v3
	v_add_nc_u32_e32 v19, 0x800, v2
	;; [unrolled: 3-line block ×3, first 2 shown]
	v_add_co_ci_u32_e64 v16, null, s9, 0, s18
	v_add_nc_u32_e32 v8, -8, v8
	v_add_co_u32 v17, s18, s8, v17
	v_add_nc_u32_e32 v23, 0x800, v4
	v_add_co_ci_u32_e64 v18, null, s9, 0, s18
	v_add_co_u32 v19, s18, s8, v19
	s_delay_alu instid0(VALU_DEP_1)
	v_add_co_ci_u32_e64 v20, null, s9, 0, s18
	v_add_co_u32 v21, s18, s8, v21
	v_cmp_eq_u32_e32 vcc_lo, 0, v8
	v_add_co_ci_u32_e64 v22, null, s9, 0, s18
	v_add_co_u32 v23, s18, s8, v23
	v_add_nc_u32_e32 v4, 0x1000, v4
	v_add_nc_u32_e32 v3, 0x1000, v3
	;; [unrolled: 1-line block ×4, first 2 shown]
	v_add_co_ci_u32_e64 v24, null, s9, 0, s18
	s_or_b32 s17, vcc_lo, s17
	s_clause 0x7
	global_store_b8 v[9:10], v7, off
	global_store_b8 v[11:12], v7, off
	;; [unrolled: 1-line block ×8, first 2 shown]
	s_and_not1_b32 exec_lo, exec_lo, s17
	s_cbranch_execnz .LBB43_3
; %bb.4:
	s_or_b32 exec_lo, exec_lo, s17
	v_cmp_ne_u32_e32 vcc_lo, v5, v6
	v_lshl_or_b32 v1, v6, 9, v0
	s_or_not1_b32 s17, vcc_lo, exec_lo
.LBB43_5:
	s_or_b32 exec_lo, exec_lo, s0
	s_delay_alu instid0(SALU_CYCLE_1)
	s_and_b32 exec_lo, exec_lo, s17
	s_cbranch_execz .LBB43_8
; %bb.6:
	v_mov_b32_e32 v2, 0
	s_mov_b32 s17, 0
	s_delay_alu instid0(VALU_DEP_1)
	v_dual_mov_b32 v4, v2 :: v_dual_mov_b32 v3, v1
.LBB43_7:                               ; =>This Inner Loop Header: Depth=1
	s_delay_alu instid0(VALU_DEP_1) | instskip(SKIP_1) | instid1(VALU_DEP_3)
	v_add_co_u32 v5, vcc_lo, s8, v3
	v_add_co_u32 v3, s0, 0x200, v3
	v_add_co_ci_u32_e32 v6, vcc_lo, s9, v4, vcc_lo
	v_add_co_ci_u32_e64 v4, vcc_lo, 0, v4, s0
	s_delay_alu instid0(VALU_DEP_3) | instskip(SKIP_2) | instid1(SALU_CYCLE_1)
	v_cmp_le_i32_e32 vcc_lo, s7, v3
	global_store_b8 v[5:6], v2, off
	s_or_b32 s17, vcc_lo, s17
	s_and_not1_b32 exec_lo, exec_lo, s17
	s_cbranch_execnz .LBB43_7
.LBB43_8:
	s_or_b32 exec_lo, exec_lo, s1
	s_mul_i32 s17, s14, s4
	s_mov_b32 s18, exec_lo
	s_waitcnt lgkmcnt(0)
	s_waitcnt_vscnt null, 0x0
	s_barrier
	buffer_gl0_inv
	v_cmpx_gt_i32_e64 s17, v0
	s_cbranch_execz .LBB43_13
; %bb.9:
	v_lshlrev_b32_e32 v3, 2, v0
	v_mad_u64_u32 v[1:2], null, v0, s5, 0
	v_mov_b32_e32 v5, v0
	s_mov_b32 s1, 0
	s_delay_alu instid0(VALU_DEP_3) | instskip(NEXT) | instid1(VALU_DEP_1)
	v_add_co_u32 v3, s0, s12, v3
	v_add_co_ci_u32_e64 v4, null, s13, 0, s0
	s_mov_b32 s0, s5
	s_sub_i32 s12, 0, s4
	s_lshl_b64 s[4:5], s[0:1], 9
	s_set_inst_prefetch_distance 0x1
	s_branch .LBB43_11
	.p2align	6
.LBB43_10:                              ;   in Loop: Header=BB43_11 Depth=1
	s_or_b32 exec_lo, exec_lo, s0
	v_add_nc_u32_e32 v5, 0x200, v5
	v_add_co_u32 v1, vcc_lo, v1, s4
	v_add_co_ci_u32_e32 v2, vcc_lo, s5, v2, vcc_lo
	s_delay_alu instid0(VALU_DEP_3) | instskip(SKIP_1) | instid1(VALU_DEP_1)
	v_cmp_le_i32_e32 vcc_lo, s17, v5
	v_add_co_u32 v3, s0, 0x800, v3
	v_add_co_ci_u32_e64 v4, s0, 0, v4, s0
	s_or_b32 s1, vcc_lo, s1
	s_delay_alu instid0(SALU_CYCLE_1)
	s_and_not1_b32 exec_lo, exec_lo, s1
	s_cbranch_execz .LBB43_13
.LBB43_11:                              ; =>This Inner Loop Header: Depth=1
	global_load_b32 v7, v[3:4], off
	v_add_nc_u32_e32 v6, v5, v2
	s_delay_alu instid0(VALU_DEP_1) | instskip(NEXT) | instid1(VALU_DEP_1)
	v_lshrrev_b32_e32 v6, s6, v6
	v_cmp_gt_i32_e64 s0, s14, v6
	s_waitcnt vmcnt(0)
	v_cmp_eq_u32_e32 vcc_lo, s16, v7
	s_delay_alu instid0(VALU_DEP_2) | instskip(NEXT) | instid1(SALU_CYCLE_1)
	s_and_b32 s13, vcc_lo, s0
	s_and_saveexec_b32 s0, s13
	s_cbranch_execz .LBB43_10
; %bb.12:                               ;   in Loop: Header=BB43_11 Depth=1
	v_mad_u64_u32 v[7:8], null, s12, v6, v[5:6]
	s_delay_alu instid0(VALU_DEP_1)
	v_add_nc_u16 v7, v7, 1
	global_store_b8 v6, v7, s[8:9]
	s_branch .LBB43_10
.LBB43_13:
	s_set_inst_prefetch_distance 0x2
	s_or_b32 exec_lo, exec_lo, s18
	s_cmp_eq_u32 s15, 0
	s_waitcnt_vscnt null, 0x0
	s_barrier
	buffer_gl0_inv
	s_cbranch_scc1 .LBB43_24
; %bb.14:
	s_cmp_lt_i32 s14, 1
	s_cbranch_scc1 .LBB43_19
; %bb.15:
	v_mbcnt_lo_u32_b32 v1, -1, 0
	s_add_i32 s0, s7, 0x1ff
	s_delay_alu instid0(SALU_CYCLE_1) | instskip(NEXT) | instid1(SALU_CYCLE_1)
	s_ashr_i32 s1, s0, 31
	s_lshr_b32 s1, s1, 23
	s_delay_alu instid0(VALU_DEP_1) | instskip(SKIP_1) | instid1(SALU_CYCLE_1)
	v_dual_mov_b32 v1, 0 :: v_dual_lshlrev_b32 v2, 2, v1
	s_add_i32 s0, s0, s1
	s_ashr_i32 s0, s0, 9
	s_delay_alu instid0(VALU_DEP_1)
	v_xor_b32_e32 v4, 4, v2
	v_xor_b32_e32 v5, 8, v2
	;; [unrolled: 1-line block ×5, first 2 shown]
	v_dual_mov_b32 v3, v1 :: v_dual_mov_b32 v2, v0
	s_max_i32 s1, s0, 1
	s_set_inst_prefetch_distance 0x1
	s_branch .LBB43_17
	.p2align	6
.LBB43_16:                              ;   in Loop: Header=BB43_17 Depth=1
	s_or_b32 exec_lo, exec_lo, s0
	s_waitcnt vmcnt(0)
	v_cmp_ne_u16_e32 vcc_lo, 0, v9
	s_add_i32 s1, s1, -1
	s_delay_alu instid0(SALU_CYCLE_1)
	s_cmp_eq_u32 s1, 0
	v_cndmask_b32_e64 v9, 0, 1, vcc_lo
	ds_bpermute_b32 v9, v4, v9
	s_waitcnt lgkmcnt(0)
	v_add_co_ci_u32_e64 v10, s0, 0, v9, vcc_lo
	ds_bpermute_b32 v10, v5, v10
	s_waitcnt lgkmcnt(0)
	v_add_co_ci_u32_e32 v9, vcc_lo, v10, v9, vcc_lo
	v_add_co_u32 v2, vcc_lo, 0x200, v2
	v_add_co_ci_u32_e32 v3, vcc_lo, 0, v3, vcc_lo
	ds_bpermute_b32 v10, v6, v9
	s_waitcnt lgkmcnt(0)
	v_add_nc_u32_e32 v9, v9, v10
	ds_bpermute_b32 v10, v7, v9
	s_waitcnt lgkmcnt(0)
	v_add_nc_u32_e32 v9, v9, v10
	ds_bpermute_b32 v10, v8, v9
	s_waitcnt lgkmcnt(0)
	v_add3_u32 v1, v10, v1, v9
	s_cbranch_scc1 .LBB43_20
.LBB43_17:                              ; =>This Inner Loop Header: Depth=1
	v_mov_b32_e32 v9, 0
	s_mov_b32 s0, exec_lo
	v_cmpx_gt_i32_e64 s7, v2
	s_cbranch_execz .LBB43_16
; %bb.18:                               ;   in Loop: Header=BB43_17 Depth=1
	v_add_co_u32 v9, vcc_lo, s8, v2
	v_add_co_ci_u32_e32 v10, vcc_lo, s9, v3, vcc_lo
	global_load_u8 v9, v[9:10], off
	s_branch .LBB43_16
.LBB43_19:
	v_mov_b32_e32 v1, 0
.LBB43_20:
	s_set_inst_prefetch_distance 0x2
	v_and_b32_e32 v2, 31, v0
	s_mov_b32 s0, exec_lo
	s_delay_alu instid0(VALU_DEP_1)
	v_cmpx_eq_u32_e32 0, v2
	s_cbranch_execz .LBB43_22
; %bb.21:
	v_lshrrev_b32_e32 v2, 3, v0
	s_delay_alu instid0(VALU_DEP_1)
	v_and_b32_e32 v2, 0x7c, v2
	ds_store_b32 v2, v1
.LBB43_22:
	s_or_b32 exec_lo, exec_lo, s0
	s_waitcnt lgkmcnt(0)
	s_barrier
	buffer_gl0_inv
	s_mov_b32 s0, exec_lo
	v_cmpx_eq_u32_e32 0, v0
	s_cbranch_execz .LBB43_24
; %bb.23:
	v_mov_b32_e32 v8, 0
	s_add_u32 s0, s10, s2
	s_addc_u32 s1, s11, s3
	ds_load_b128 v[0:3], v8
	ds_load_b128 v[4:7], v8 offset:16
	s_waitcnt lgkmcnt(1)
	v_add_nc_u32_e32 v0, v1, v0
	s_delay_alu instid0(VALU_DEP_1) | instskip(NEXT) | instid1(VALU_DEP_1)
	v_add_nc_u32_e32 v0, v0, v2
	v_add_nc_u32_e32 v0, v0, v3
	s_waitcnt lgkmcnt(0)
	s_delay_alu instid0(VALU_DEP_1) | instskip(NEXT) | instid1(VALU_DEP_1)
	v_add_nc_u32_e32 v4, v0, v4
	v_add_nc_u32_e32 v4, v4, v5
	s_delay_alu instid0(VALU_DEP_1) | instskip(NEXT) | instid1(VALU_DEP_1)
	v_add_nc_u32_e32 v4, v4, v6
	v_add_nc_u32_e32 v9, v4, v7
	ds_load_b128 v[0:3], v8 offset:32
	ds_load_b128 v[4:7], v8 offset:48
	s_waitcnt lgkmcnt(1)
	v_add_nc_u32_e32 v0, v9, v0
	s_delay_alu instid0(VALU_DEP_1) | instskip(NEXT) | instid1(VALU_DEP_1)
	v_add_nc_u32_e32 v0, v0, v1
	v_add_nc_u32_e32 v0, v0, v2
	s_delay_alu instid0(VALU_DEP_1) | instskip(SKIP_1) | instid1(VALU_DEP_1)
	v_add_nc_u32_e32 v0, v0, v3
	s_waitcnt lgkmcnt(0)
	v_add_nc_u32_e32 v0, v0, v4
	s_delay_alu instid0(VALU_DEP_1) | instskip(NEXT) | instid1(VALU_DEP_1)
	v_add_nc_u32_e32 v0, v0, v5
	v_add_nc_u32_e32 v0, v0, v6
	s_delay_alu instid0(VALU_DEP_1)
	v_add_nc_u32_e32 v0, v0, v7
	global_store_b32 v8, v0, s[0:1]
.LBB43_24:
	s_nop 0
	s_sendmsg sendmsg(MSG_DEALLOC_VGPRS)
	s_endpgm
	.section	.rodata,"a",@progbits
	.p2align	6, 0x0
	.amdhsa_kernel _ZN5aiter22opus_moe_sorting_entryINS_32MoeSortingMultiPhaseKernel_P0_v2INS_19MoeSortingProblemMpIifhLi1ELb1ELb1ELb1EEEEENS4_5KargsEEEvT0_
		.amdhsa_group_segment_fixed_size 64
		.amdhsa_private_segment_fixed_size 0
		.amdhsa_kernarg_size 72
		.amdhsa_user_sgpr_count 15
		.amdhsa_user_sgpr_dispatch_ptr 0
		.amdhsa_user_sgpr_queue_ptr 0
		.amdhsa_user_sgpr_kernarg_segment_ptr 1
		.amdhsa_user_sgpr_dispatch_id 0
		.amdhsa_user_sgpr_private_segment_size 0
		.amdhsa_wavefront_size32 1
		.amdhsa_uses_dynamic_stack 0
		.amdhsa_enable_private_segment 0
		.amdhsa_system_sgpr_workgroup_id_x 1
		.amdhsa_system_sgpr_workgroup_id_y 0
		.amdhsa_system_sgpr_workgroup_id_z 0
		.amdhsa_system_sgpr_workgroup_info 0
		.amdhsa_system_vgpr_workitem_id 0
		.amdhsa_next_free_vgpr 25
		.amdhsa_next_free_sgpr 20
		.amdhsa_reserve_vcc 1
		.amdhsa_float_round_mode_32 0
		.amdhsa_float_round_mode_16_64 0
		.amdhsa_float_denorm_mode_32 3
		.amdhsa_float_denorm_mode_16_64 3
		.amdhsa_dx10_clamp 1
		.amdhsa_ieee_mode 1
		.amdhsa_fp16_overflow 0
		.amdhsa_workgroup_processor_mode 1
		.amdhsa_memory_ordered 1
		.amdhsa_forward_progress 0
		.amdhsa_shared_vgpr_count 0
		.amdhsa_exception_fp_ieee_invalid_op 0
		.amdhsa_exception_fp_denorm_src 0
		.amdhsa_exception_fp_ieee_div_zero 0
		.amdhsa_exception_fp_ieee_overflow 0
		.amdhsa_exception_fp_ieee_underflow 0
		.amdhsa_exception_fp_ieee_inexact 0
		.amdhsa_exception_int_div_zero 0
	.end_amdhsa_kernel
	.section	.text._ZN5aiter22opus_moe_sorting_entryINS_32MoeSortingMultiPhaseKernel_P0_v2INS_19MoeSortingProblemMpIifhLi1ELb1ELb1ELb1EEEEENS4_5KargsEEEvT0_,"axG",@progbits,_ZN5aiter22opus_moe_sorting_entryINS_32MoeSortingMultiPhaseKernel_P0_v2INS_19MoeSortingProblemMpIifhLi1ELb1ELb1ELb1EEEEENS4_5KargsEEEvT0_,comdat
.Lfunc_end43:
	.size	_ZN5aiter22opus_moe_sorting_entryINS_32MoeSortingMultiPhaseKernel_P0_v2INS_19MoeSortingProblemMpIifhLi1ELb1ELb1ELb1EEEEENS4_5KargsEEEvT0_, .Lfunc_end43-_ZN5aiter22opus_moe_sorting_entryINS_32MoeSortingMultiPhaseKernel_P0_v2INS_19MoeSortingProblemMpIifhLi1ELb1ELb1ELb1EEEEENS4_5KargsEEEvT0_
                                        ; -- End function
	.section	.AMDGPU.csdata,"",@progbits
; Kernel info:
; codeLenInByte = 1476
; NumSgprs: 22
; NumVgprs: 25
; ScratchSize: 0
; MemoryBound: 0
; FloatMode: 240
; IeeeMode: 1
; LDSByteSize: 64 bytes/workgroup (compile time only)
; SGPRBlocks: 2
; VGPRBlocks: 3
; NumSGPRsForWavesPerEU: 22
; NumVGPRsForWavesPerEU: 25
; Occupancy: 16
; WaveLimiterHint : 1
; COMPUTE_PGM_RSRC2:SCRATCH_EN: 0
; COMPUTE_PGM_RSRC2:USER_SGPR: 15
; COMPUTE_PGM_RSRC2:TRAP_HANDLER: 0
; COMPUTE_PGM_RSRC2:TGID_X_EN: 1
; COMPUTE_PGM_RSRC2:TGID_Y_EN: 0
; COMPUTE_PGM_RSRC2:TGID_Z_EN: 0
; COMPUTE_PGM_RSRC2:TIDIG_COMP_CNT: 0
	.section	.text._ZN5aiter22opus_moe_sorting_entryINS_32MoeSortingMultiPhaseKernel_P0_v2INS_19MoeSortingProblemMpIifhLi1ELb1ELb0ELb1EEEEENS4_5KargsEEEvT0_,"axG",@progbits,_ZN5aiter22opus_moe_sorting_entryINS_32MoeSortingMultiPhaseKernel_P0_v2INS_19MoeSortingProblemMpIifhLi1ELb1ELb0ELb1EEEEENS4_5KargsEEEvT0_,comdat
	.protected	_ZN5aiter22opus_moe_sorting_entryINS_32MoeSortingMultiPhaseKernel_P0_v2INS_19MoeSortingProblemMpIifhLi1ELb1ELb0ELb1EEEEENS4_5KargsEEEvT0_ ; -- Begin function _ZN5aiter22opus_moe_sorting_entryINS_32MoeSortingMultiPhaseKernel_P0_v2INS_19MoeSortingProblemMpIifhLi1ELb1ELb0ELb1EEEEENS4_5KargsEEEvT0_
	.globl	_ZN5aiter22opus_moe_sorting_entryINS_32MoeSortingMultiPhaseKernel_P0_v2INS_19MoeSortingProblemMpIifhLi1ELb1ELb0ELb1EEEEENS4_5KargsEEEvT0_
	.p2align	8
	.type	_ZN5aiter22opus_moe_sorting_entryINS_32MoeSortingMultiPhaseKernel_P0_v2INS_19MoeSortingProblemMpIifhLi1ELb1ELb0ELb1EEEEENS4_5KargsEEEvT0_,@function
_ZN5aiter22opus_moe_sorting_entryINS_32MoeSortingMultiPhaseKernel_P0_v2INS_19MoeSortingProblemMpIifhLi1ELb1ELb0ELb1EEEEENS4_5KargsEEEvT0_: ; @_ZN5aiter22opus_moe_sorting_entryINS_32MoeSortingMultiPhaseKernel_P0_v2INS_19MoeSortingProblemMpIifhLi1ELb1ELb0ELb1EEEEENS4_5KargsEEEvT0_
; %bb.0:
	s_clause 0x2
	s_load_b128 s[4:7], s[0:1], 0x18
	s_load_b64 s[2:3], s[0:1], 0x10
	s_load_b32 s9, s[0:1], 0x28
	s_mov_b32 s8, s15
	s_waitcnt lgkmcnt(0)
	s_mul_i32 s10, s5, s15
	s_delay_alu instid0(SALU_CYCLE_1)
	s_ashr_i32 s11, s10, 31
	s_add_u32 s10, s2, s10
	s_addc_u32 s11, s3, s11
	s_mov_b32 s3, exec_lo
	v_cmpx_gt_i32_e64 s5, v0
	s_cbranch_execz .LBB44_8
; %bb.1:
	v_xad_u32 v2, v0, -1, s5
	v_mov_b32_e32 v1, v0
	s_mov_b32 s12, -1
	s_mov_b32 s2, exec_lo
	s_delay_alu instid0(VALU_DEP_2)
	v_cmpx_lt_u32_e32 0xdff, v2
	s_cbranch_execz .LBB44_5
; %bb.2:
	v_lshrrev_b32_e32 v1, 9, v2
	v_add_nc_u32_e32 v3, 0x600, v0
	v_or_b32_e32 v2, 0x400, v0
	s_mov_b32 s12, 0
	v_mov_b32_e32 v7, 0
	v_add_nc_u32_e32 v5, 1, v1
	v_add_nc_u32_e32 v1, 0x200, v0
	v_mov_b32_e32 v4, v3
	v_mov_b32_e32 v3, v2
	s_delay_alu instid0(VALU_DEP_3) | instskip(SKIP_1) | instid1(VALU_DEP_1)
	v_mov_b32_e32 v2, v1
	v_dual_mov_b32 v1, v0 :: v_dual_and_b32 v6, 0xfffff8, v5
	v_mov_b32_e32 v8, v6
.LBB44_3:                               ; =>This Inner Loop Header: Depth=1
	s_delay_alu instid0(VALU_DEP_2) | instskip(NEXT) | instid1(VALU_DEP_1)
	v_add_co_u32 v9, s13, s10, v1
	v_add_co_ci_u32_e64 v10, null, s11, 0, s13
	v_add_co_u32 v11, s13, s10, v2
	v_add_nc_u32_e32 v17, 0x800, v1
	v_add_co_ci_u32_e64 v12, null, s11, 0, s13
	v_add_co_u32 v13, s13, s10, v3
	v_add_nc_u32_e32 v19, 0x800, v2
	;; [unrolled: 3-line block ×3, first 2 shown]
	v_add_co_ci_u32_e64 v16, null, s11, 0, s13
	v_add_nc_u32_e32 v8, -8, v8
	v_add_co_u32 v17, s13, s10, v17
	v_add_nc_u32_e32 v23, 0x800, v4
	v_add_co_ci_u32_e64 v18, null, s11, 0, s13
	v_add_co_u32 v19, s13, s10, v19
	s_delay_alu instid0(VALU_DEP_1)
	v_add_co_ci_u32_e64 v20, null, s11, 0, s13
	v_add_co_u32 v21, s13, s10, v21
	v_cmp_eq_u32_e32 vcc_lo, 0, v8
	v_add_co_ci_u32_e64 v22, null, s11, 0, s13
	v_add_co_u32 v23, s13, s10, v23
	v_add_nc_u32_e32 v4, 0x1000, v4
	v_add_nc_u32_e32 v3, 0x1000, v3
	;; [unrolled: 1-line block ×4, first 2 shown]
	v_add_co_ci_u32_e64 v24, null, s11, 0, s13
	s_or_b32 s12, vcc_lo, s12
	s_clause 0x7
	global_store_b8 v[9:10], v7, off
	global_store_b8 v[11:12], v7, off
	;; [unrolled: 1-line block ×8, first 2 shown]
	s_and_not1_b32 exec_lo, exec_lo, s12
	s_cbranch_execnz .LBB44_3
; %bb.4:
	s_or_b32 exec_lo, exec_lo, s12
	v_cmp_ne_u32_e32 vcc_lo, v5, v6
	v_lshl_or_b32 v1, v6, 9, v0
	s_or_not1_b32 s12, vcc_lo, exec_lo
.LBB44_5:
	s_or_b32 exec_lo, exec_lo, s2
	s_delay_alu instid0(SALU_CYCLE_1)
	s_and_b32 exec_lo, exec_lo, s12
	s_cbranch_execz .LBB44_8
; %bb.6:
	v_mov_b32_e32 v2, 0
	s_mov_b32 s12, 0
	s_delay_alu instid0(VALU_DEP_1)
	v_dual_mov_b32 v4, v2 :: v_dual_mov_b32 v3, v1
.LBB44_7:                               ; =>This Inner Loop Header: Depth=1
	s_delay_alu instid0(VALU_DEP_1) | instskip(SKIP_1) | instid1(VALU_DEP_3)
	v_add_co_u32 v5, vcc_lo, s10, v3
	v_add_co_u32 v3, s2, 0x200, v3
	v_add_co_ci_u32_e32 v6, vcc_lo, s11, v4, vcc_lo
	v_add_co_ci_u32_e64 v4, vcc_lo, 0, v4, s2
	s_delay_alu instid0(VALU_DEP_3) | instskip(SKIP_2) | instid1(SALU_CYCLE_1)
	v_cmp_le_i32_e32 vcc_lo, s5, v3
	global_store_b8 v[5:6], v2, off
	s_or_b32 s12, vcc_lo, s12
	s_and_not1_b32 exec_lo, exec_lo, s12
	s_cbranch_execnz .LBB44_7
.LBB44_8:
	s_or_b32 exec_lo, exec_lo, s3
	s_load_b64 s[2:3], s[0:1], 0x38
	s_mul_i32 s4, s6, s4
	s_mov_b32 s12, exec_lo
	s_waitcnt lgkmcnt(0)
	s_waitcnt_vscnt null, 0x0
	s_barrier
	buffer_gl0_inv
	v_cmpx_gt_i32_e64 s4, v0
	s_cbranch_execz .LBB44_13
; %bb.9:
	s_load_b64 s[14:15], s[0:1], 0x0
	v_lshlrev_b32_e32 v3, 2, v0
	v_mad_u64_u32 v[1:2], null, v0, s7, 0
	v_mov_b32_e32 v5, v0
	s_mov_b32 s1, 0
	s_sub_i32 s13, 0, s6
	s_waitcnt lgkmcnt(0)
	v_add_co_u32 v3, s0, s14, v3
	s_delay_alu instid0(VALU_DEP_1) | instskip(SKIP_1) | instid1(SALU_CYCLE_1)
	v_add_co_ci_u32_e64 v4, null, s15, 0, s0
	s_mov_b32 s0, s7
	s_lshl_b64 s[6:7], s[0:1], 9
	s_set_inst_prefetch_distance 0x1
	s_branch .LBB44_11
	.p2align	6
.LBB44_10:                              ;   in Loop: Header=BB44_11 Depth=1
	s_or_b32 exec_lo, exec_lo, s0
	v_add_nc_u32_e32 v5, 0x200, v5
	v_add_co_u32 v1, vcc_lo, v1, s6
	v_add_co_ci_u32_e32 v2, vcc_lo, s7, v2, vcc_lo
	s_delay_alu instid0(VALU_DEP_3) | instskip(SKIP_1) | instid1(VALU_DEP_1)
	v_cmp_le_i32_e32 vcc_lo, s4, v5
	v_add_co_u32 v3, s0, 0x800, v3
	v_add_co_ci_u32_e64 v4, s0, 0, v4, s0
	s_or_b32 s1, vcc_lo, s1
	s_delay_alu instid0(SALU_CYCLE_1)
	s_and_not1_b32 exec_lo, exec_lo, s1
	s_cbranch_execz .LBB44_13
.LBB44_11:                              ; =>This Inner Loop Header: Depth=1
	global_load_b32 v6, v[3:4], off
	s_mov_b32 s0, exec_lo
	s_waitcnt vmcnt(0)
	v_cmpx_eq_u32_e64 s8, v6
	s_cbranch_execz .LBB44_10
; %bb.12:                               ;   in Loop: Header=BB44_11 Depth=1
	v_add_nc_u32_e32 v6, v5, v2
	s_delay_alu instid0(VALU_DEP_1) | instskip(NEXT) | instid1(VALU_DEP_1)
	v_lshrrev_b32_e32 v8, s9, v6
	v_mad_u64_u32 v[6:7], null, s13, v8, v[5:6]
	s_delay_alu instid0(VALU_DEP_1)
	v_add_nc_u16 v6, v6, 1
	global_store_b8 v8, v6, s[10:11]
	s_branch .LBB44_10
.LBB44_13:
	s_set_inst_prefetch_distance 0x2
	s_or_b32 exec_lo, exec_lo, s12
	s_cmp_lt_i32 s5, 1
	s_waitcnt_vscnt null, 0x0
	s_barrier
	buffer_gl0_inv
	s_cbranch_scc1 .LBB44_18
; %bb.14:
	v_mbcnt_lo_u32_b32 v1, -1, 0
	s_add_i32 s0, s5, 0x1ff
	s_delay_alu instid0(SALU_CYCLE_1) | instskip(NEXT) | instid1(VALU_DEP_1)
	s_lshr_b32 s1, s0, 9
	v_dual_mov_b32 v1, 0 :: v_dual_lshlrev_b32 v2, 2, v1
	s_delay_alu instid0(VALU_DEP_1)
	v_xor_b32_e32 v4, 4, v2
	v_xor_b32_e32 v5, 8, v2
	;; [unrolled: 1-line block ×5, first 2 shown]
	v_dual_mov_b32 v3, v1 :: v_dual_mov_b32 v2, v0
	s_set_inst_prefetch_distance 0x1
	s_branch .LBB44_16
	.p2align	6
.LBB44_15:                              ;   in Loop: Header=BB44_16 Depth=1
	s_or_b32 exec_lo, exec_lo, s0
	s_waitcnt vmcnt(0)
	v_cmp_ne_u16_e32 vcc_lo, 0, v9
	s_add_i32 s1, s1, -1
	s_delay_alu instid0(SALU_CYCLE_1)
	s_cmp_eq_u32 s1, 0
	v_cndmask_b32_e64 v9, 0, 1, vcc_lo
	ds_bpermute_b32 v9, v4, v9
	s_waitcnt lgkmcnt(0)
	v_add_co_ci_u32_e64 v10, s0, 0, v9, vcc_lo
	ds_bpermute_b32 v10, v5, v10
	s_waitcnt lgkmcnt(0)
	v_add_co_ci_u32_e32 v9, vcc_lo, v10, v9, vcc_lo
	v_add_co_u32 v2, vcc_lo, 0x200, v2
	v_add_co_ci_u32_e32 v3, vcc_lo, 0, v3, vcc_lo
	ds_bpermute_b32 v10, v6, v9
	s_waitcnt lgkmcnt(0)
	v_add_nc_u32_e32 v9, v9, v10
	ds_bpermute_b32 v10, v7, v9
	s_waitcnt lgkmcnt(0)
	v_add_nc_u32_e32 v9, v9, v10
	ds_bpermute_b32 v10, v8, v9
	s_waitcnt lgkmcnt(0)
	v_add3_u32 v1, v10, v1, v9
	s_cbranch_scc1 .LBB44_19
.LBB44_16:                              ; =>This Inner Loop Header: Depth=1
	v_mov_b32_e32 v9, 0
	s_mov_b32 s0, exec_lo
	v_cmpx_gt_i32_e64 s5, v2
	s_cbranch_execz .LBB44_15
; %bb.17:                               ;   in Loop: Header=BB44_16 Depth=1
	v_add_co_u32 v9, vcc_lo, s10, v2
	v_add_co_ci_u32_e32 v10, vcc_lo, s11, v3, vcc_lo
	global_load_u8 v9, v[9:10], off
	s_branch .LBB44_15
.LBB44_18:
	v_mov_b32_e32 v1, 0
.LBB44_19:
	s_set_inst_prefetch_distance 0x2
	v_and_b32_e32 v2, 31, v0
	s_mov_b32 s0, exec_lo
	s_delay_alu instid0(VALU_DEP_1)
	v_cmpx_eq_u32_e32 0, v2
	s_cbranch_execz .LBB44_21
; %bb.20:
	v_lshrrev_b32_e32 v2, 3, v0
	s_delay_alu instid0(VALU_DEP_1)
	v_and_b32_e32 v2, 0x7c, v2
	ds_store_b32 v2, v1
.LBB44_21:
	s_or_b32 exec_lo, exec_lo, s0
	s_waitcnt lgkmcnt(0)
	s_barrier
	buffer_gl0_inv
	s_mov_b32 s0, exec_lo
	v_cmpx_eq_u32_e32 0, v0
	s_cbranch_execz .LBB44_23
; %bb.22:
	v_mov_b32_e32 v8, 0
	s_ashr_i32 s9, s8, 31
	ds_load_b128 v[0:3], v8
	ds_load_b128 v[4:7], v8 offset:16
	s_lshl_b64 s[0:1], s[8:9], 2
	s_delay_alu instid0(SALU_CYCLE_1) | instskip(SKIP_3) | instid1(VALU_DEP_1)
	s_add_u32 s0, s2, s0
	s_addc_u32 s1, s3, s1
	s_waitcnt lgkmcnt(1)
	v_add_nc_u32_e32 v0, v1, v0
	v_add_nc_u32_e32 v0, v0, v2
	s_delay_alu instid0(VALU_DEP_1) | instskip(SKIP_1) | instid1(VALU_DEP_1)
	v_add_nc_u32_e32 v0, v0, v3
	s_waitcnt lgkmcnt(0)
	v_add_nc_u32_e32 v4, v0, v4
	s_delay_alu instid0(VALU_DEP_1) | instskip(NEXT) | instid1(VALU_DEP_1)
	v_add_nc_u32_e32 v4, v4, v5
	v_add_nc_u32_e32 v4, v4, v6
	s_delay_alu instid0(VALU_DEP_1) | instskip(SKIP_4) | instid1(VALU_DEP_1)
	v_add_nc_u32_e32 v9, v4, v7
	ds_load_b128 v[0:3], v8 offset:32
	ds_load_b128 v[4:7], v8 offset:48
	s_waitcnt lgkmcnt(1)
	v_add_nc_u32_e32 v0, v9, v0
	v_add_nc_u32_e32 v0, v0, v1
	s_delay_alu instid0(VALU_DEP_1) | instskip(NEXT) | instid1(VALU_DEP_1)
	v_add_nc_u32_e32 v0, v0, v2
	v_add_nc_u32_e32 v0, v0, v3
	s_waitcnt lgkmcnt(0)
	s_delay_alu instid0(VALU_DEP_1) | instskip(NEXT) | instid1(VALU_DEP_1)
	v_add_nc_u32_e32 v0, v0, v4
	v_add_nc_u32_e32 v0, v0, v5
	s_delay_alu instid0(VALU_DEP_1) | instskip(NEXT) | instid1(VALU_DEP_1)
	v_add_nc_u32_e32 v0, v0, v6
	v_add_nc_u32_e32 v0, v0, v7
	global_store_b32 v8, v0, s[0:1]
.LBB44_23:
	s_nop 0
	s_sendmsg sendmsg(MSG_DEALLOC_VGPRS)
	s_endpgm
	.section	.rodata,"a",@progbits
	.p2align	6, 0x0
	.amdhsa_kernel _ZN5aiter22opus_moe_sorting_entryINS_32MoeSortingMultiPhaseKernel_P0_v2INS_19MoeSortingProblemMpIifhLi1ELb1ELb0ELb1EEEEENS4_5KargsEEEvT0_
		.amdhsa_group_segment_fixed_size 64
		.amdhsa_private_segment_fixed_size 0
		.amdhsa_kernarg_size 72
		.amdhsa_user_sgpr_count 15
		.amdhsa_user_sgpr_dispatch_ptr 0
		.amdhsa_user_sgpr_queue_ptr 0
		.amdhsa_user_sgpr_kernarg_segment_ptr 1
		.amdhsa_user_sgpr_dispatch_id 0
		.amdhsa_user_sgpr_private_segment_size 0
		.amdhsa_wavefront_size32 1
		.amdhsa_uses_dynamic_stack 0
		.amdhsa_enable_private_segment 0
		.amdhsa_system_sgpr_workgroup_id_x 1
		.amdhsa_system_sgpr_workgroup_id_y 0
		.amdhsa_system_sgpr_workgroup_id_z 0
		.amdhsa_system_sgpr_workgroup_info 0
		.amdhsa_system_vgpr_workitem_id 0
		.amdhsa_next_free_vgpr 25
		.amdhsa_next_free_sgpr 16
		.amdhsa_reserve_vcc 1
		.amdhsa_float_round_mode_32 0
		.amdhsa_float_round_mode_16_64 0
		.amdhsa_float_denorm_mode_32 3
		.amdhsa_float_denorm_mode_16_64 3
		.amdhsa_dx10_clamp 1
		.amdhsa_ieee_mode 1
		.amdhsa_fp16_overflow 0
		.amdhsa_workgroup_processor_mode 1
		.amdhsa_memory_ordered 1
		.amdhsa_forward_progress 0
		.amdhsa_shared_vgpr_count 0
		.amdhsa_exception_fp_ieee_invalid_op 0
		.amdhsa_exception_fp_denorm_src 0
		.amdhsa_exception_fp_ieee_div_zero 0
		.amdhsa_exception_fp_ieee_overflow 0
		.amdhsa_exception_fp_ieee_underflow 0
		.amdhsa_exception_fp_ieee_inexact 0
		.amdhsa_exception_int_div_zero 0
	.end_amdhsa_kernel
	.section	.text._ZN5aiter22opus_moe_sorting_entryINS_32MoeSortingMultiPhaseKernel_P0_v2INS_19MoeSortingProblemMpIifhLi1ELb1ELb0ELb1EEEEENS4_5KargsEEEvT0_,"axG",@progbits,_ZN5aiter22opus_moe_sorting_entryINS_32MoeSortingMultiPhaseKernel_P0_v2INS_19MoeSortingProblemMpIifhLi1ELb1ELb0ELb1EEEEENS4_5KargsEEEvT0_,comdat
.Lfunc_end44:
	.size	_ZN5aiter22opus_moe_sorting_entryINS_32MoeSortingMultiPhaseKernel_P0_v2INS_19MoeSortingProblemMpIifhLi1ELb1ELb0ELb1EEEEENS4_5KargsEEEvT0_, .Lfunc_end44-_ZN5aiter22opus_moe_sorting_entryINS_32MoeSortingMultiPhaseKernel_P0_v2INS_19MoeSortingProblemMpIifhLi1ELb1ELb0ELb1EEEEENS4_5KargsEEEvT0_
                                        ; -- End function
	.section	.AMDGPU.csdata,"",@progbits
; Kernel info:
; codeLenInByte = 1400
; NumSgprs: 18
; NumVgprs: 25
; ScratchSize: 0
; MemoryBound: 0
; FloatMode: 240
; IeeeMode: 1
; LDSByteSize: 64 bytes/workgroup (compile time only)
; SGPRBlocks: 2
; VGPRBlocks: 3
; NumSGPRsForWavesPerEU: 18
; NumVGPRsForWavesPerEU: 25
; Occupancy: 16
; WaveLimiterHint : 0
; COMPUTE_PGM_RSRC2:SCRATCH_EN: 0
; COMPUTE_PGM_RSRC2:USER_SGPR: 15
; COMPUTE_PGM_RSRC2:TRAP_HANDLER: 0
; COMPUTE_PGM_RSRC2:TGID_X_EN: 1
; COMPUTE_PGM_RSRC2:TGID_Y_EN: 0
; COMPUTE_PGM_RSRC2:TGID_Z_EN: 0
; COMPUTE_PGM_RSRC2:TIDIG_COMP_CNT: 0
	.section	.text._ZN5aiter22opus_moe_sorting_entryINS_32MoeSortingMultiPhaseKernel_P0_v2INS_19MoeSortingProblemMpIifhLi1ELb0ELb1ELb1EEEEENS4_5KargsEEEvT0_,"axG",@progbits,_ZN5aiter22opus_moe_sorting_entryINS_32MoeSortingMultiPhaseKernel_P0_v2INS_19MoeSortingProblemMpIifhLi1ELb0ELb1ELb1EEEEENS4_5KargsEEEvT0_,comdat
	.protected	_ZN5aiter22opus_moe_sorting_entryINS_32MoeSortingMultiPhaseKernel_P0_v2INS_19MoeSortingProblemMpIifhLi1ELb0ELb1ELb1EEEEENS4_5KargsEEEvT0_ ; -- Begin function _ZN5aiter22opus_moe_sorting_entryINS_32MoeSortingMultiPhaseKernel_P0_v2INS_19MoeSortingProblemMpIifhLi1ELb0ELb1ELb1EEEEENS4_5KargsEEEvT0_
	.globl	_ZN5aiter22opus_moe_sorting_entryINS_32MoeSortingMultiPhaseKernel_P0_v2INS_19MoeSortingProblemMpIifhLi1ELb0ELb1ELb1EEEEENS4_5KargsEEEvT0_
	.p2align	8
	.type	_ZN5aiter22opus_moe_sorting_entryINS_32MoeSortingMultiPhaseKernel_P0_v2INS_19MoeSortingProblemMpIifhLi1ELb0ELb1ELb1EEEEENS4_5KargsEEEvT0_,@function
_ZN5aiter22opus_moe_sorting_entryINS_32MoeSortingMultiPhaseKernel_P0_v2INS_19MoeSortingProblemMpIifhLi1ELb0ELb1ELb1EEEEENS4_5KargsEEEvT0_: ; @_ZN5aiter22opus_moe_sorting_entryINS_32MoeSortingMultiPhaseKernel_P0_v2INS_19MoeSortingProblemMpIifhLi1ELb0ELb1ELb1EEEEENS4_5KargsEEEvT0_
; %bb.0:
	s_clause 0x1
	s_load_b128 s[8:11], s[0:1], 0x0
	s_load_b64 s[2:3], s[0:1], 0x10
	s_mov_b32 s12, s15
	s_waitcnt lgkmcnt(0)
	s_load_b32 s13, s[10:11], 0x0
	s_load_b128 s[4:7], s[0:1], 0x20
	s_waitcnt lgkmcnt(0)
	s_add_i32 s7, s13, 31
	s_delay_alu instid0(SALU_CYCLE_1) | instskip(NEXT) | instid1(SALU_CYCLE_1)
	s_ashr_i32 s10, s7, 31
	s_lshr_b32 s10, s10, 27
	s_delay_alu instid0(SALU_CYCLE_1) | instskip(NEXT) | instid1(SALU_CYCLE_1)
	s_add_i32 s7, s7, s10
	s_and_not1_b32 s7, s7, 31
	s_delay_alu instid0(SALU_CYCLE_1) | instskip(NEXT) | instid1(SALU_CYCLE_1)
	s_mul_i32 s10, s7, s15
	s_ashr_i32 s11, s10, 31
	s_add_u32 s10, s2, s10
	s_addc_u32 s11, s3, s11
	s_mov_b32 s3, exec_lo
	v_cmpx_gt_i32_e64 s7, v0
	s_cbranch_execz .LBB45_8
; %bb.1:
	v_xad_u32 v2, v0, -1, s7
	v_mov_b32_e32 v1, v0
	s_mov_b32 s14, -1
	s_mov_b32 s2, exec_lo
	s_delay_alu instid0(VALU_DEP_2)
	v_cmpx_lt_u32_e32 0xdff, v2
	s_cbranch_execz .LBB45_5
; %bb.2:
	v_lshrrev_b32_e32 v1, 9, v2
	v_add_nc_u32_e32 v3, 0x600, v0
	v_or_b32_e32 v2, 0x400, v0
	s_mov_b32 s14, 0
	v_mov_b32_e32 v7, 0
	v_add_nc_u32_e32 v5, 1, v1
	v_add_nc_u32_e32 v1, 0x200, v0
	v_mov_b32_e32 v4, v3
	v_mov_b32_e32 v3, v2
	s_delay_alu instid0(VALU_DEP_3) | instskip(SKIP_1) | instid1(VALU_DEP_1)
	v_mov_b32_e32 v2, v1
	v_dual_mov_b32 v1, v0 :: v_dual_and_b32 v6, 0xfffff8, v5
	v_mov_b32_e32 v8, v6
.LBB45_3:                               ; =>This Inner Loop Header: Depth=1
	s_delay_alu instid0(VALU_DEP_2) | instskip(NEXT) | instid1(VALU_DEP_1)
	v_add_co_u32 v9, s15, s10, v1
	v_add_co_ci_u32_e64 v10, null, s11, 0, s15
	v_add_co_u32 v11, s15, s10, v2
	v_add_nc_u32_e32 v17, 0x800, v1
	v_add_co_ci_u32_e64 v12, null, s11, 0, s15
	v_add_co_u32 v13, s15, s10, v3
	v_add_nc_u32_e32 v19, 0x800, v2
	;; [unrolled: 3-line block ×3, first 2 shown]
	v_add_co_ci_u32_e64 v16, null, s11, 0, s15
	v_add_nc_u32_e32 v8, -8, v8
	v_add_co_u32 v17, s15, s10, v17
	v_add_nc_u32_e32 v23, 0x800, v4
	v_add_co_ci_u32_e64 v18, null, s11, 0, s15
	v_add_co_u32 v19, s15, s10, v19
	s_delay_alu instid0(VALU_DEP_1)
	v_add_co_ci_u32_e64 v20, null, s11, 0, s15
	v_add_co_u32 v21, s15, s10, v21
	v_cmp_eq_u32_e32 vcc_lo, 0, v8
	v_add_co_ci_u32_e64 v22, null, s11, 0, s15
	v_add_co_u32 v23, s15, s10, v23
	v_add_nc_u32_e32 v4, 0x1000, v4
	v_add_nc_u32_e32 v3, 0x1000, v3
	;; [unrolled: 1-line block ×4, first 2 shown]
	v_add_co_ci_u32_e64 v24, null, s11, 0, s15
	s_or_b32 s14, vcc_lo, s14
	s_clause 0x7
	global_store_b8 v[9:10], v7, off
	global_store_b8 v[11:12], v7, off
	global_store_b8 v[13:14], v7, off
	global_store_b8 v[15:16], v7, off
	global_store_b8 v[17:18], v7, off
	global_store_b8 v[19:20], v7, off
	global_store_b8 v[21:22], v7, off
	global_store_b8 v[23:24], v7, off
	s_and_not1_b32 exec_lo, exec_lo, s14
	s_cbranch_execnz .LBB45_3
; %bb.4:
	s_or_b32 exec_lo, exec_lo, s14
	v_cmp_ne_u32_e32 vcc_lo, v5, v6
	v_lshl_or_b32 v1, v6, 9, v0
	s_or_not1_b32 s14, vcc_lo, exec_lo
.LBB45_5:
	s_or_b32 exec_lo, exec_lo, s2
	s_delay_alu instid0(SALU_CYCLE_1)
	s_and_b32 exec_lo, exec_lo, s14
	s_cbranch_execz .LBB45_8
; %bb.6:
	v_mov_b32_e32 v2, 0
	s_mov_b32 s14, 0
	s_delay_alu instid0(VALU_DEP_1)
	v_dual_mov_b32 v4, v2 :: v_dual_mov_b32 v3, v1
.LBB45_7:                               ; =>This Inner Loop Header: Depth=1
	s_delay_alu instid0(VALU_DEP_1) | instskip(SKIP_1) | instid1(VALU_DEP_3)
	v_add_co_u32 v5, vcc_lo, s10, v3
	v_add_co_u32 v3, s2, 0x200, v3
	v_add_co_ci_u32_e32 v6, vcc_lo, s11, v4, vcc_lo
	v_add_co_ci_u32_e64 v4, vcc_lo, 0, v4, s2
	s_delay_alu instid0(VALU_DEP_3) | instskip(SKIP_2) | instid1(SALU_CYCLE_1)
	v_cmp_le_i32_e32 vcc_lo, s7, v3
	global_store_b8 v[5:6], v2, off
	s_or_b32 s14, vcc_lo, s14
	s_and_not1_b32 exec_lo, exec_lo, s14
	s_cbranch_execnz .LBB45_7
.LBB45_8:
	s_or_b32 exec_lo, exec_lo, s3
	s_load_b64 s[2:3], s[0:1], 0x38
	s_mul_i32 s14, s13, s4
	s_mov_b32 s15, exec_lo
	s_waitcnt lgkmcnt(0)
	s_waitcnt_vscnt null, 0x0
	s_barrier
	buffer_gl0_inv
	v_cmpx_gt_i32_e64 s14, v0
	s_cbranch_execz .LBB45_13
; %bb.9:
	v_lshlrev_b32_e32 v3, 2, v0
	v_mad_u64_u32 v[1:2], null, v0, s5, 0
	v_mov_b32_e32 v5, v0
	s_mov_b32 s1, 0
	s_delay_alu instid0(VALU_DEP_3) | instskip(NEXT) | instid1(VALU_DEP_1)
	v_add_co_u32 v3, s0, s8, v3
	v_add_co_ci_u32_e64 v4, null, s9, 0, s0
	s_mov_b32 s0, s5
	s_sub_i32 s8, 0, s4
	s_lshl_b64 s[4:5], s[0:1], 9
	s_set_inst_prefetch_distance 0x1
	s_branch .LBB45_11
	.p2align	6
.LBB45_10:                              ;   in Loop: Header=BB45_11 Depth=1
	s_or_b32 exec_lo, exec_lo, s0
	v_add_nc_u32_e32 v5, 0x200, v5
	v_add_co_u32 v1, vcc_lo, v1, s4
	v_add_co_ci_u32_e32 v2, vcc_lo, s5, v2, vcc_lo
	s_delay_alu instid0(VALU_DEP_3) | instskip(SKIP_1) | instid1(VALU_DEP_1)
	v_cmp_le_i32_e32 vcc_lo, s14, v5
	v_add_co_u32 v3, s0, 0x800, v3
	v_add_co_ci_u32_e64 v4, s0, 0, v4, s0
	s_or_b32 s1, vcc_lo, s1
	s_delay_alu instid0(SALU_CYCLE_1)
	s_and_not1_b32 exec_lo, exec_lo, s1
	s_cbranch_execz .LBB45_13
.LBB45_11:                              ; =>This Inner Loop Header: Depth=1
	global_load_b32 v7, v[3:4], off
	v_add_nc_u32_e32 v6, v5, v2
	s_delay_alu instid0(VALU_DEP_1) | instskip(NEXT) | instid1(VALU_DEP_1)
	v_lshrrev_b32_e32 v6, s6, v6
	v_cmp_gt_i32_e64 s0, s13, v6
	s_waitcnt vmcnt(0)
	v_cmp_eq_u32_e32 vcc_lo, s12, v7
	s_delay_alu instid0(VALU_DEP_2) | instskip(NEXT) | instid1(SALU_CYCLE_1)
	s_and_b32 s9, vcc_lo, s0
	s_and_saveexec_b32 s0, s9
	s_cbranch_execz .LBB45_10
; %bb.12:                               ;   in Loop: Header=BB45_11 Depth=1
	v_mad_u64_u32 v[7:8], null, s8, v6, v[5:6]
	s_delay_alu instid0(VALU_DEP_1)
	v_add_nc_u16 v7, v7, 1
	global_store_b8 v6, v7, s[10:11]
	s_branch .LBB45_10
.LBB45_13:
	s_set_inst_prefetch_distance 0x2
	s_or_b32 exec_lo, exec_lo, s15
	s_cmp_lt_i32 s13, 1
	s_waitcnt_vscnt null, 0x0
	s_barrier
	buffer_gl0_inv
	s_cbranch_scc1 .LBB45_18
; %bb.14:
	v_mbcnt_lo_u32_b32 v1, -1, 0
	s_add_i32 s0, s7, 0x1ff
	s_delay_alu instid0(SALU_CYCLE_1) | instskip(NEXT) | instid1(SALU_CYCLE_1)
	s_lshr_b32 s0, s0, 9
	s_max_u32 s1, s0, 1
	s_delay_alu instid0(VALU_DEP_1) | instskip(NEXT) | instid1(VALU_DEP_1)
	v_dual_mov_b32 v1, 0 :: v_dual_lshlrev_b32 v2, 2, v1
	v_xor_b32_e32 v4, 4, v2
	v_xor_b32_e32 v5, 8, v2
	;; [unrolled: 1-line block ×5, first 2 shown]
	v_dual_mov_b32 v3, v1 :: v_dual_mov_b32 v2, v0
	s_set_inst_prefetch_distance 0x1
	s_branch .LBB45_16
	.p2align	6
.LBB45_15:                              ;   in Loop: Header=BB45_16 Depth=1
	s_or_b32 exec_lo, exec_lo, s0
	s_waitcnt vmcnt(0)
	v_cmp_ne_u16_e32 vcc_lo, 0, v9
	s_add_i32 s1, s1, -1
	s_delay_alu instid0(SALU_CYCLE_1)
	s_cmp_eq_u32 s1, 0
	v_cndmask_b32_e64 v9, 0, 1, vcc_lo
	ds_bpermute_b32 v9, v4, v9
	s_waitcnt lgkmcnt(0)
	v_add_co_ci_u32_e64 v10, s0, 0, v9, vcc_lo
	ds_bpermute_b32 v10, v5, v10
	s_waitcnt lgkmcnt(0)
	v_add_co_ci_u32_e32 v9, vcc_lo, v10, v9, vcc_lo
	v_add_co_u32 v2, vcc_lo, 0x200, v2
	v_add_co_ci_u32_e32 v3, vcc_lo, 0, v3, vcc_lo
	ds_bpermute_b32 v10, v6, v9
	s_waitcnt lgkmcnt(0)
	v_add_nc_u32_e32 v9, v9, v10
	ds_bpermute_b32 v10, v7, v9
	s_waitcnt lgkmcnt(0)
	v_add_nc_u32_e32 v9, v9, v10
	ds_bpermute_b32 v10, v8, v9
	s_waitcnt lgkmcnt(0)
	v_add3_u32 v1, v10, v1, v9
	s_cbranch_scc1 .LBB45_19
.LBB45_16:                              ; =>This Inner Loop Header: Depth=1
	v_mov_b32_e32 v9, 0
	s_mov_b32 s0, exec_lo
	v_cmpx_gt_i32_e64 s7, v2
	s_cbranch_execz .LBB45_15
; %bb.17:                               ;   in Loop: Header=BB45_16 Depth=1
	v_add_co_u32 v9, vcc_lo, s10, v2
	v_add_co_ci_u32_e32 v10, vcc_lo, s11, v3, vcc_lo
	global_load_u8 v9, v[9:10], off
	s_branch .LBB45_15
.LBB45_18:
	v_mov_b32_e32 v1, 0
.LBB45_19:
	s_set_inst_prefetch_distance 0x2
	v_and_b32_e32 v2, 31, v0
	s_mov_b32 s0, exec_lo
	s_delay_alu instid0(VALU_DEP_1)
	v_cmpx_eq_u32_e32 0, v2
	s_cbranch_execz .LBB45_21
; %bb.20:
	v_lshrrev_b32_e32 v2, 3, v0
	s_delay_alu instid0(VALU_DEP_1)
	v_and_b32_e32 v2, 0x7c, v2
	ds_store_b32 v2, v1
.LBB45_21:
	s_or_b32 exec_lo, exec_lo, s0
	s_waitcnt lgkmcnt(0)
	s_barrier
	buffer_gl0_inv
	s_mov_b32 s0, exec_lo
	v_cmpx_eq_u32_e32 0, v0
	s_cbranch_execz .LBB45_23
; %bb.22:
	v_mov_b32_e32 v8, 0
	s_ashr_i32 s13, s12, 31
	ds_load_b128 v[0:3], v8
	ds_load_b128 v[4:7], v8 offset:16
	s_lshl_b64 s[0:1], s[12:13], 2
	s_delay_alu instid0(SALU_CYCLE_1) | instskip(SKIP_3) | instid1(VALU_DEP_1)
	s_add_u32 s0, s2, s0
	s_addc_u32 s1, s3, s1
	s_waitcnt lgkmcnt(1)
	v_add_nc_u32_e32 v0, v1, v0
	v_add_nc_u32_e32 v0, v0, v2
	s_delay_alu instid0(VALU_DEP_1) | instskip(SKIP_1) | instid1(VALU_DEP_1)
	v_add_nc_u32_e32 v0, v0, v3
	s_waitcnt lgkmcnt(0)
	v_add_nc_u32_e32 v4, v0, v4
	s_delay_alu instid0(VALU_DEP_1) | instskip(NEXT) | instid1(VALU_DEP_1)
	v_add_nc_u32_e32 v4, v4, v5
	v_add_nc_u32_e32 v4, v4, v6
	s_delay_alu instid0(VALU_DEP_1) | instskip(SKIP_4) | instid1(VALU_DEP_1)
	v_add_nc_u32_e32 v9, v4, v7
	ds_load_b128 v[0:3], v8 offset:32
	ds_load_b128 v[4:7], v8 offset:48
	s_waitcnt lgkmcnt(1)
	v_add_nc_u32_e32 v0, v9, v0
	v_add_nc_u32_e32 v0, v0, v1
	s_delay_alu instid0(VALU_DEP_1) | instskip(NEXT) | instid1(VALU_DEP_1)
	v_add_nc_u32_e32 v0, v0, v2
	v_add_nc_u32_e32 v0, v0, v3
	s_waitcnt lgkmcnt(0)
	s_delay_alu instid0(VALU_DEP_1) | instskip(NEXT) | instid1(VALU_DEP_1)
	v_add_nc_u32_e32 v0, v0, v4
	v_add_nc_u32_e32 v0, v0, v5
	s_delay_alu instid0(VALU_DEP_1) | instskip(NEXT) | instid1(VALU_DEP_1)
	v_add_nc_u32_e32 v0, v0, v6
	v_add_nc_u32_e32 v0, v0, v7
	global_store_b32 v8, v0, s[0:1]
.LBB45_23:
	s_nop 0
	s_sendmsg sendmsg(MSG_DEALLOC_VGPRS)
	s_endpgm
	.section	.rodata,"a",@progbits
	.p2align	6, 0x0
	.amdhsa_kernel _ZN5aiter22opus_moe_sorting_entryINS_32MoeSortingMultiPhaseKernel_P0_v2INS_19MoeSortingProblemMpIifhLi1ELb0ELb1ELb1EEEEENS4_5KargsEEEvT0_
		.amdhsa_group_segment_fixed_size 64
		.amdhsa_private_segment_fixed_size 0
		.amdhsa_kernarg_size 72
		.amdhsa_user_sgpr_count 15
		.amdhsa_user_sgpr_dispatch_ptr 0
		.amdhsa_user_sgpr_queue_ptr 0
		.amdhsa_user_sgpr_kernarg_segment_ptr 1
		.amdhsa_user_sgpr_dispatch_id 0
		.amdhsa_user_sgpr_private_segment_size 0
		.amdhsa_wavefront_size32 1
		.amdhsa_uses_dynamic_stack 0
		.amdhsa_enable_private_segment 0
		.amdhsa_system_sgpr_workgroup_id_x 1
		.amdhsa_system_sgpr_workgroup_id_y 0
		.amdhsa_system_sgpr_workgroup_id_z 0
		.amdhsa_system_sgpr_workgroup_info 0
		.amdhsa_system_vgpr_workitem_id 0
		.amdhsa_next_free_vgpr 25
		.amdhsa_next_free_sgpr 16
		.amdhsa_reserve_vcc 1
		.amdhsa_float_round_mode_32 0
		.amdhsa_float_round_mode_16_64 0
		.amdhsa_float_denorm_mode_32 3
		.amdhsa_float_denorm_mode_16_64 3
		.amdhsa_dx10_clamp 1
		.amdhsa_ieee_mode 1
		.amdhsa_fp16_overflow 0
		.amdhsa_workgroup_processor_mode 1
		.amdhsa_memory_ordered 1
		.amdhsa_forward_progress 0
		.amdhsa_shared_vgpr_count 0
		.amdhsa_exception_fp_ieee_invalid_op 0
		.amdhsa_exception_fp_denorm_src 0
		.amdhsa_exception_fp_ieee_div_zero 0
		.amdhsa_exception_fp_ieee_overflow 0
		.amdhsa_exception_fp_ieee_underflow 0
		.amdhsa_exception_fp_ieee_inexact 0
		.amdhsa_exception_int_div_zero 0
	.end_amdhsa_kernel
	.section	.text._ZN5aiter22opus_moe_sorting_entryINS_32MoeSortingMultiPhaseKernel_P0_v2INS_19MoeSortingProblemMpIifhLi1ELb0ELb1ELb1EEEEENS4_5KargsEEEvT0_,"axG",@progbits,_ZN5aiter22opus_moe_sorting_entryINS_32MoeSortingMultiPhaseKernel_P0_v2INS_19MoeSortingProblemMpIifhLi1ELb0ELb1ELb1EEEEENS4_5KargsEEEvT0_,comdat
.Lfunc_end45:
	.size	_ZN5aiter22opus_moe_sorting_entryINS_32MoeSortingMultiPhaseKernel_P0_v2INS_19MoeSortingProblemMpIifhLi1ELb0ELb1ELb1EEEEENS4_5KargsEEEvT0_, .Lfunc_end45-_ZN5aiter22opus_moe_sorting_entryINS_32MoeSortingMultiPhaseKernel_P0_v2INS_19MoeSortingProblemMpIifhLi1ELb0ELb1ELb1EEEEENS4_5KargsEEEvT0_
                                        ; -- End function
	.section	.AMDGPU.csdata,"",@progbits
; Kernel info:
; codeLenInByte = 1444
; NumSgprs: 18
; NumVgprs: 25
; ScratchSize: 0
; MemoryBound: 0
; FloatMode: 240
; IeeeMode: 1
; LDSByteSize: 64 bytes/workgroup (compile time only)
; SGPRBlocks: 2
; VGPRBlocks: 3
; NumSGPRsForWavesPerEU: 18
; NumVGPRsForWavesPerEU: 25
; Occupancy: 16
; WaveLimiterHint : 1
; COMPUTE_PGM_RSRC2:SCRATCH_EN: 0
; COMPUTE_PGM_RSRC2:USER_SGPR: 15
; COMPUTE_PGM_RSRC2:TRAP_HANDLER: 0
; COMPUTE_PGM_RSRC2:TGID_X_EN: 1
; COMPUTE_PGM_RSRC2:TGID_Y_EN: 0
; COMPUTE_PGM_RSRC2:TGID_Z_EN: 0
; COMPUTE_PGM_RSRC2:TIDIG_COMP_CNT: 0
	.section	.text._ZN5aiter22opus_moe_sorting_entryINS_32MoeSortingMultiPhaseKernel_P0_v2INS_19MoeSortingProblemMpIifhLi1ELb0ELb0ELb1EEEEENS4_5KargsEEEvT0_,"axG",@progbits,_ZN5aiter22opus_moe_sorting_entryINS_32MoeSortingMultiPhaseKernel_P0_v2INS_19MoeSortingProblemMpIifhLi1ELb0ELb0ELb1EEEEENS4_5KargsEEEvT0_,comdat
	.protected	_ZN5aiter22opus_moe_sorting_entryINS_32MoeSortingMultiPhaseKernel_P0_v2INS_19MoeSortingProblemMpIifhLi1ELb0ELb0ELb1EEEEENS4_5KargsEEEvT0_ ; -- Begin function _ZN5aiter22opus_moe_sorting_entryINS_32MoeSortingMultiPhaseKernel_P0_v2INS_19MoeSortingProblemMpIifhLi1ELb0ELb0ELb1EEEEENS4_5KargsEEEvT0_
	.globl	_ZN5aiter22opus_moe_sorting_entryINS_32MoeSortingMultiPhaseKernel_P0_v2INS_19MoeSortingProblemMpIifhLi1ELb0ELb0ELb1EEEEENS4_5KargsEEEvT0_
	.p2align	8
	.type	_ZN5aiter22opus_moe_sorting_entryINS_32MoeSortingMultiPhaseKernel_P0_v2INS_19MoeSortingProblemMpIifhLi1ELb0ELb0ELb1EEEEENS4_5KargsEEEvT0_,@function
_ZN5aiter22opus_moe_sorting_entryINS_32MoeSortingMultiPhaseKernel_P0_v2INS_19MoeSortingProblemMpIifhLi1ELb0ELb0ELb1EEEEENS4_5KargsEEEvT0_: ; @_ZN5aiter22opus_moe_sorting_entryINS_32MoeSortingMultiPhaseKernel_P0_v2INS_19MoeSortingProblemMpIifhLi1ELb0ELb0ELb1EEEEENS4_5KargsEEEvT0_
; %bb.0:
	s_clause 0x2
	s_load_b128 s[4:7], s[0:1], 0x18
	s_load_b64 s[2:3], s[0:1], 0x10
	s_load_b32 s9, s[0:1], 0x28
	s_mov_b32 s8, s15
	s_waitcnt lgkmcnt(0)
	s_mul_i32 s10, s5, s15
	s_delay_alu instid0(SALU_CYCLE_1)
	s_ashr_i32 s11, s10, 31
	s_add_u32 s10, s2, s10
	s_addc_u32 s11, s3, s11
	s_mov_b32 s3, exec_lo
	v_cmpx_gt_i32_e64 s5, v0
	s_cbranch_execz .LBB46_8
; %bb.1:
	v_xad_u32 v2, v0, -1, s5
	v_mov_b32_e32 v1, v0
	s_mov_b32 s12, -1
	s_mov_b32 s2, exec_lo
	s_delay_alu instid0(VALU_DEP_2)
	v_cmpx_lt_u32_e32 0xdff, v2
	s_cbranch_execz .LBB46_5
; %bb.2:
	v_lshrrev_b32_e32 v1, 9, v2
	v_add_nc_u32_e32 v3, 0x600, v0
	v_or_b32_e32 v2, 0x400, v0
	s_mov_b32 s12, 0
	v_mov_b32_e32 v7, 0
	v_add_nc_u32_e32 v5, 1, v1
	v_add_nc_u32_e32 v1, 0x200, v0
	v_mov_b32_e32 v4, v3
	v_mov_b32_e32 v3, v2
	s_delay_alu instid0(VALU_DEP_3) | instskip(SKIP_1) | instid1(VALU_DEP_1)
	v_mov_b32_e32 v2, v1
	v_dual_mov_b32 v1, v0 :: v_dual_and_b32 v6, 0xfffff8, v5
	v_mov_b32_e32 v8, v6
.LBB46_3:                               ; =>This Inner Loop Header: Depth=1
	s_delay_alu instid0(VALU_DEP_2) | instskip(NEXT) | instid1(VALU_DEP_1)
	v_add_co_u32 v9, s13, s10, v1
	v_add_co_ci_u32_e64 v10, null, s11, 0, s13
	v_add_co_u32 v11, s13, s10, v2
	v_add_nc_u32_e32 v17, 0x800, v1
	v_add_co_ci_u32_e64 v12, null, s11, 0, s13
	v_add_co_u32 v13, s13, s10, v3
	v_add_nc_u32_e32 v19, 0x800, v2
	;; [unrolled: 3-line block ×3, first 2 shown]
	v_add_co_ci_u32_e64 v16, null, s11, 0, s13
	v_add_nc_u32_e32 v8, -8, v8
	v_add_co_u32 v17, s13, s10, v17
	v_add_nc_u32_e32 v23, 0x800, v4
	v_add_co_ci_u32_e64 v18, null, s11, 0, s13
	v_add_co_u32 v19, s13, s10, v19
	s_delay_alu instid0(VALU_DEP_1)
	v_add_co_ci_u32_e64 v20, null, s11, 0, s13
	v_add_co_u32 v21, s13, s10, v21
	v_cmp_eq_u32_e32 vcc_lo, 0, v8
	v_add_co_ci_u32_e64 v22, null, s11, 0, s13
	v_add_co_u32 v23, s13, s10, v23
	v_add_nc_u32_e32 v4, 0x1000, v4
	v_add_nc_u32_e32 v3, 0x1000, v3
	;; [unrolled: 1-line block ×4, first 2 shown]
	v_add_co_ci_u32_e64 v24, null, s11, 0, s13
	s_or_b32 s12, vcc_lo, s12
	s_clause 0x7
	global_store_b8 v[9:10], v7, off
	global_store_b8 v[11:12], v7, off
	global_store_b8 v[13:14], v7, off
	global_store_b8 v[15:16], v7, off
	global_store_b8 v[17:18], v7, off
	global_store_b8 v[19:20], v7, off
	global_store_b8 v[21:22], v7, off
	global_store_b8 v[23:24], v7, off
	s_and_not1_b32 exec_lo, exec_lo, s12
	s_cbranch_execnz .LBB46_3
; %bb.4:
	s_or_b32 exec_lo, exec_lo, s12
	v_cmp_ne_u32_e32 vcc_lo, v5, v6
	v_lshl_or_b32 v1, v6, 9, v0
	s_or_not1_b32 s12, vcc_lo, exec_lo
.LBB46_5:
	s_or_b32 exec_lo, exec_lo, s2
	s_delay_alu instid0(SALU_CYCLE_1)
	s_and_b32 exec_lo, exec_lo, s12
	s_cbranch_execz .LBB46_8
; %bb.6:
	v_mov_b32_e32 v2, 0
	s_mov_b32 s12, 0
	s_delay_alu instid0(VALU_DEP_1)
	v_dual_mov_b32 v4, v2 :: v_dual_mov_b32 v3, v1
.LBB46_7:                               ; =>This Inner Loop Header: Depth=1
	s_delay_alu instid0(VALU_DEP_1) | instskip(SKIP_1) | instid1(VALU_DEP_3)
	v_add_co_u32 v5, vcc_lo, s10, v3
	v_add_co_u32 v3, s2, 0x200, v3
	v_add_co_ci_u32_e32 v6, vcc_lo, s11, v4, vcc_lo
	v_add_co_ci_u32_e64 v4, vcc_lo, 0, v4, s2
	s_delay_alu instid0(VALU_DEP_3) | instskip(SKIP_2) | instid1(SALU_CYCLE_1)
	v_cmp_le_i32_e32 vcc_lo, s5, v3
	global_store_b8 v[5:6], v2, off
	s_or_b32 s12, vcc_lo, s12
	s_and_not1_b32 exec_lo, exec_lo, s12
	s_cbranch_execnz .LBB46_7
.LBB46_8:
	s_or_b32 exec_lo, exec_lo, s3
	s_load_b64 s[2:3], s[0:1], 0x38
	s_mul_i32 s4, s6, s4
	s_mov_b32 s12, exec_lo
	s_waitcnt lgkmcnt(0)
	s_waitcnt_vscnt null, 0x0
	s_barrier
	buffer_gl0_inv
	v_cmpx_gt_i32_e64 s4, v0
	s_cbranch_execz .LBB46_13
; %bb.9:
	s_load_b64 s[14:15], s[0:1], 0x0
	v_lshlrev_b32_e32 v3, 2, v0
	v_mad_u64_u32 v[1:2], null, v0, s7, 0
	v_mov_b32_e32 v5, v0
	s_mov_b32 s1, 0
	s_sub_i32 s13, 0, s6
	s_waitcnt lgkmcnt(0)
	v_add_co_u32 v3, s0, s14, v3
	s_delay_alu instid0(VALU_DEP_1) | instskip(SKIP_1) | instid1(SALU_CYCLE_1)
	v_add_co_ci_u32_e64 v4, null, s15, 0, s0
	s_mov_b32 s0, s7
	s_lshl_b64 s[6:7], s[0:1], 9
	s_set_inst_prefetch_distance 0x1
	s_branch .LBB46_11
	.p2align	6
.LBB46_10:                              ;   in Loop: Header=BB46_11 Depth=1
	s_or_b32 exec_lo, exec_lo, s0
	v_add_nc_u32_e32 v5, 0x200, v5
	v_add_co_u32 v1, vcc_lo, v1, s6
	v_add_co_ci_u32_e32 v2, vcc_lo, s7, v2, vcc_lo
	s_delay_alu instid0(VALU_DEP_3) | instskip(SKIP_1) | instid1(VALU_DEP_1)
	v_cmp_le_i32_e32 vcc_lo, s4, v5
	v_add_co_u32 v3, s0, 0x800, v3
	v_add_co_ci_u32_e64 v4, s0, 0, v4, s0
	s_or_b32 s1, vcc_lo, s1
	s_delay_alu instid0(SALU_CYCLE_1)
	s_and_not1_b32 exec_lo, exec_lo, s1
	s_cbranch_execz .LBB46_13
.LBB46_11:                              ; =>This Inner Loop Header: Depth=1
	global_load_b32 v6, v[3:4], off
	s_mov_b32 s0, exec_lo
	s_waitcnt vmcnt(0)
	v_cmpx_eq_u32_e64 s8, v6
	s_cbranch_execz .LBB46_10
; %bb.12:                               ;   in Loop: Header=BB46_11 Depth=1
	v_add_nc_u32_e32 v6, v5, v2
	s_delay_alu instid0(VALU_DEP_1) | instskip(NEXT) | instid1(VALU_DEP_1)
	v_lshrrev_b32_e32 v8, s9, v6
	v_mad_u64_u32 v[6:7], null, s13, v8, v[5:6]
	s_delay_alu instid0(VALU_DEP_1)
	v_add_nc_u16 v6, v6, 1
	global_store_b8 v8, v6, s[10:11]
	s_branch .LBB46_10
.LBB46_13:
	s_set_inst_prefetch_distance 0x2
	s_or_b32 exec_lo, exec_lo, s12
	s_cmp_lt_i32 s5, 1
	s_waitcnt_vscnt null, 0x0
	s_barrier
	buffer_gl0_inv
	s_cbranch_scc1 .LBB46_18
; %bb.14:
	v_mbcnt_lo_u32_b32 v1, -1, 0
	s_add_i32 s0, s5, 0x1ff
	s_delay_alu instid0(SALU_CYCLE_1) | instskip(NEXT) | instid1(VALU_DEP_1)
	s_lshr_b32 s1, s0, 9
	v_dual_mov_b32 v1, 0 :: v_dual_lshlrev_b32 v2, 2, v1
	s_delay_alu instid0(VALU_DEP_1)
	v_xor_b32_e32 v4, 4, v2
	v_xor_b32_e32 v5, 8, v2
	;; [unrolled: 1-line block ×5, first 2 shown]
	v_dual_mov_b32 v3, v1 :: v_dual_mov_b32 v2, v0
	s_set_inst_prefetch_distance 0x1
	s_branch .LBB46_16
	.p2align	6
.LBB46_15:                              ;   in Loop: Header=BB46_16 Depth=1
	s_or_b32 exec_lo, exec_lo, s0
	s_waitcnt vmcnt(0)
	v_cmp_ne_u16_e32 vcc_lo, 0, v9
	s_add_i32 s1, s1, -1
	s_delay_alu instid0(SALU_CYCLE_1)
	s_cmp_eq_u32 s1, 0
	v_cndmask_b32_e64 v9, 0, 1, vcc_lo
	ds_bpermute_b32 v9, v4, v9
	s_waitcnt lgkmcnt(0)
	v_add_co_ci_u32_e64 v10, s0, 0, v9, vcc_lo
	ds_bpermute_b32 v10, v5, v10
	s_waitcnt lgkmcnt(0)
	v_add_co_ci_u32_e32 v9, vcc_lo, v10, v9, vcc_lo
	v_add_co_u32 v2, vcc_lo, 0x200, v2
	v_add_co_ci_u32_e32 v3, vcc_lo, 0, v3, vcc_lo
	ds_bpermute_b32 v10, v6, v9
	s_waitcnt lgkmcnt(0)
	v_add_nc_u32_e32 v9, v9, v10
	ds_bpermute_b32 v10, v7, v9
	s_waitcnt lgkmcnt(0)
	v_add_nc_u32_e32 v9, v9, v10
	ds_bpermute_b32 v10, v8, v9
	s_waitcnt lgkmcnt(0)
	v_add3_u32 v1, v10, v1, v9
	s_cbranch_scc1 .LBB46_19
.LBB46_16:                              ; =>This Inner Loop Header: Depth=1
	v_mov_b32_e32 v9, 0
	s_mov_b32 s0, exec_lo
	v_cmpx_gt_i32_e64 s5, v2
	s_cbranch_execz .LBB46_15
; %bb.17:                               ;   in Loop: Header=BB46_16 Depth=1
	v_add_co_u32 v9, vcc_lo, s10, v2
	v_add_co_ci_u32_e32 v10, vcc_lo, s11, v3, vcc_lo
	global_load_u8 v9, v[9:10], off
	s_branch .LBB46_15
.LBB46_18:
	v_mov_b32_e32 v1, 0
.LBB46_19:
	s_set_inst_prefetch_distance 0x2
	v_and_b32_e32 v2, 31, v0
	s_mov_b32 s0, exec_lo
	s_delay_alu instid0(VALU_DEP_1)
	v_cmpx_eq_u32_e32 0, v2
	s_cbranch_execz .LBB46_21
; %bb.20:
	v_lshrrev_b32_e32 v2, 3, v0
	s_delay_alu instid0(VALU_DEP_1)
	v_and_b32_e32 v2, 0x7c, v2
	ds_store_b32 v2, v1
.LBB46_21:
	s_or_b32 exec_lo, exec_lo, s0
	s_waitcnt lgkmcnt(0)
	s_barrier
	buffer_gl0_inv
	s_mov_b32 s0, exec_lo
	v_cmpx_eq_u32_e32 0, v0
	s_cbranch_execz .LBB46_23
; %bb.22:
	v_mov_b32_e32 v8, 0
	s_ashr_i32 s9, s8, 31
	ds_load_b128 v[0:3], v8
	ds_load_b128 v[4:7], v8 offset:16
	s_lshl_b64 s[0:1], s[8:9], 2
	s_delay_alu instid0(SALU_CYCLE_1) | instskip(SKIP_3) | instid1(VALU_DEP_1)
	s_add_u32 s0, s2, s0
	s_addc_u32 s1, s3, s1
	s_waitcnt lgkmcnt(1)
	v_add_nc_u32_e32 v0, v1, v0
	v_add_nc_u32_e32 v0, v0, v2
	s_delay_alu instid0(VALU_DEP_1) | instskip(SKIP_1) | instid1(VALU_DEP_1)
	v_add_nc_u32_e32 v0, v0, v3
	s_waitcnt lgkmcnt(0)
	v_add_nc_u32_e32 v4, v0, v4
	s_delay_alu instid0(VALU_DEP_1) | instskip(NEXT) | instid1(VALU_DEP_1)
	v_add_nc_u32_e32 v4, v4, v5
	v_add_nc_u32_e32 v4, v4, v6
	s_delay_alu instid0(VALU_DEP_1) | instskip(SKIP_4) | instid1(VALU_DEP_1)
	v_add_nc_u32_e32 v9, v4, v7
	ds_load_b128 v[0:3], v8 offset:32
	ds_load_b128 v[4:7], v8 offset:48
	s_waitcnt lgkmcnt(1)
	v_add_nc_u32_e32 v0, v9, v0
	v_add_nc_u32_e32 v0, v0, v1
	s_delay_alu instid0(VALU_DEP_1) | instskip(NEXT) | instid1(VALU_DEP_1)
	v_add_nc_u32_e32 v0, v0, v2
	v_add_nc_u32_e32 v0, v0, v3
	s_waitcnt lgkmcnt(0)
	s_delay_alu instid0(VALU_DEP_1) | instskip(NEXT) | instid1(VALU_DEP_1)
	v_add_nc_u32_e32 v0, v0, v4
	v_add_nc_u32_e32 v0, v0, v5
	s_delay_alu instid0(VALU_DEP_1) | instskip(NEXT) | instid1(VALU_DEP_1)
	v_add_nc_u32_e32 v0, v0, v6
	v_add_nc_u32_e32 v0, v0, v7
	global_store_b32 v8, v0, s[0:1]
.LBB46_23:
	s_nop 0
	s_sendmsg sendmsg(MSG_DEALLOC_VGPRS)
	s_endpgm
	.section	.rodata,"a",@progbits
	.p2align	6, 0x0
	.amdhsa_kernel _ZN5aiter22opus_moe_sorting_entryINS_32MoeSortingMultiPhaseKernel_P0_v2INS_19MoeSortingProblemMpIifhLi1ELb0ELb0ELb1EEEEENS4_5KargsEEEvT0_
		.amdhsa_group_segment_fixed_size 64
		.amdhsa_private_segment_fixed_size 0
		.amdhsa_kernarg_size 72
		.amdhsa_user_sgpr_count 15
		.amdhsa_user_sgpr_dispatch_ptr 0
		.amdhsa_user_sgpr_queue_ptr 0
		.amdhsa_user_sgpr_kernarg_segment_ptr 1
		.amdhsa_user_sgpr_dispatch_id 0
		.amdhsa_user_sgpr_private_segment_size 0
		.amdhsa_wavefront_size32 1
		.amdhsa_uses_dynamic_stack 0
		.amdhsa_enable_private_segment 0
		.amdhsa_system_sgpr_workgroup_id_x 1
		.amdhsa_system_sgpr_workgroup_id_y 0
		.amdhsa_system_sgpr_workgroup_id_z 0
		.amdhsa_system_sgpr_workgroup_info 0
		.amdhsa_system_vgpr_workitem_id 0
		.amdhsa_next_free_vgpr 25
		.amdhsa_next_free_sgpr 16
		.amdhsa_reserve_vcc 1
		.amdhsa_float_round_mode_32 0
		.amdhsa_float_round_mode_16_64 0
		.amdhsa_float_denorm_mode_32 3
		.amdhsa_float_denorm_mode_16_64 3
		.amdhsa_dx10_clamp 1
		.amdhsa_ieee_mode 1
		.amdhsa_fp16_overflow 0
		.amdhsa_workgroup_processor_mode 1
		.amdhsa_memory_ordered 1
		.amdhsa_forward_progress 0
		.amdhsa_shared_vgpr_count 0
		.amdhsa_exception_fp_ieee_invalid_op 0
		.amdhsa_exception_fp_denorm_src 0
		.amdhsa_exception_fp_ieee_div_zero 0
		.amdhsa_exception_fp_ieee_overflow 0
		.amdhsa_exception_fp_ieee_underflow 0
		.amdhsa_exception_fp_ieee_inexact 0
		.amdhsa_exception_int_div_zero 0
	.end_amdhsa_kernel
	.section	.text._ZN5aiter22opus_moe_sorting_entryINS_32MoeSortingMultiPhaseKernel_P0_v2INS_19MoeSortingProblemMpIifhLi1ELb0ELb0ELb1EEEEENS4_5KargsEEEvT0_,"axG",@progbits,_ZN5aiter22opus_moe_sorting_entryINS_32MoeSortingMultiPhaseKernel_P0_v2INS_19MoeSortingProblemMpIifhLi1ELb0ELb0ELb1EEEEENS4_5KargsEEEvT0_,comdat
.Lfunc_end46:
	.size	_ZN5aiter22opus_moe_sorting_entryINS_32MoeSortingMultiPhaseKernel_P0_v2INS_19MoeSortingProblemMpIifhLi1ELb0ELb0ELb1EEEEENS4_5KargsEEEvT0_, .Lfunc_end46-_ZN5aiter22opus_moe_sorting_entryINS_32MoeSortingMultiPhaseKernel_P0_v2INS_19MoeSortingProblemMpIifhLi1ELb0ELb0ELb1EEEEENS4_5KargsEEEvT0_
                                        ; -- End function
	.section	.AMDGPU.csdata,"",@progbits
; Kernel info:
; codeLenInByte = 1400
; NumSgprs: 18
; NumVgprs: 25
; ScratchSize: 0
; MemoryBound: 0
; FloatMode: 240
; IeeeMode: 1
; LDSByteSize: 64 bytes/workgroup (compile time only)
; SGPRBlocks: 2
; VGPRBlocks: 3
; NumSGPRsForWavesPerEU: 18
; NumVGPRsForWavesPerEU: 25
; Occupancy: 16
; WaveLimiterHint : 0
; COMPUTE_PGM_RSRC2:SCRATCH_EN: 0
; COMPUTE_PGM_RSRC2:USER_SGPR: 15
; COMPUTE_PGM_RSRC2:TRAP_HANDLER: 0
; COMPUTE_PGM_RSRC2:TGID_X_EN: 1
; COMPUTE_PGM_RSRC2:TGID_Y_EN: 0
; COMPUTE_PGM_RSRC2:TGID_Z_EN: 0
; COMPUTE_PGM_RSRC2:TIDIG_COMP_CNT: 0
	.section	.text._ZN5aiter22opus_moe_sorting_entryINS_32MoeSortingMultiPhaseKernel_P0_v2INS_19MoeSortingProblemMpIifiLi1ELb1ELb1ELb1EEEEENS4_5KargsEEEvT0_,"axG",@progbits,_ZN5aiter22opus_moe_sorting_entryINS_32MoeSortingMultiPhaseKernel_P0_v2INS_19MoeSortingProblemMpIifiLi1ELb1ELb1ELb1EEEEENS4_5KargsEEEvT0_,comdat
	.protected	_ZN5aiter22opus_moe_sorting_entryINS_32MoeSortingMultiPhaseKernel_P0_v2INS_19MoeSortingProblemMpIifiLi1ELb1ELb1ELb1EEEEENS4_5KargsEEEvT0_ ; -- Begin function _ZN5aiter22opus_moe_sorting_entryINS_32MoeSortingMultiPhaseKernel_P0_v2INS_19MoeSortingProblemMpIifiLi1ELb1ELb1ELb1EEEEENS4_5KargsEEEvT0_
	.globl	_ZN5aiter22opus_moe_sorting_entryINS_32MoeSortingMultiPhaseKernel_P0_v2INS_19MoeSortingProblemMpIifiLi1ELb1ELb1ELb1EEEEENS4_5KargsEEEvT0_
	.p2align	8
	.type	_ZN5aiter22opus_moe_sorting_entryINS_32MoeSortingMultiPhaseKernel_P0_v2INS_19MoeSortingProblemMpIifiLi1ELb1ELb1ELb1EEEEENS4_5KargsEEEvT0_,@function
_ZN5aiter22opus_moe_sorting_entryINS_32MoeSortingMultiPhaseKernel_P0_v2INS_19MoeSortingProblemMpIifiLi1ELb1ELb1ELb1EEEEENS4_5KargsEEEvT0_: ; @_ZN5aiter22opus_moe_sorting_entryINS_32MoeSortingMultiPhaseKernel_P0_v2INS_19MoeSortingProblemMpIifiLi1ELb1ELb1ELb1EEEEENS4_5KargsEEEvT0_
; %bb.0:
	s_mov_b32 s18, s15
	s_clause 0x1
	s_load_b128 s[12:15], s[0:1], 0x0
	s_load_b64 s[16:17], s[0:1], 0x10
	s_ashr_i32 s19, s18, 31
	s_waitcnt lgkmcnt(0)
	s_load_b32 s14, s[14:15], 0x0
	s_load_b256 s[4:11], s[0:1], 0x20
	s_lshl_b64 s[2:3], s[18:19], 2
	s_waitcnt lgkmcnt(0)
	s_add_i32 s0, s14, 31
	s_delay_alu instid0(SALU_CYCLE_1) | instskip(NEXT) | instid1(SALU_CYCLE_1)
	s_ashr_i32 s1, s0, 31
	s_lshr_b32 s1, s1, 27
	s_delay_alu instid0(SALU_CYCLE_1) | instskip(NEXT) | instid1(SALU_CYCLE_1)
	s_add_i32 s7, s0, s1
	s_and_not1_b32 s7, s7, 31
	s_add_u32 s0, s8, s2
	s_addc_u32 s1, s9, s3
	s_mul_i32 s8, s7, s18
	s_load_b32 s15, s[0:1], 0x0
	s_ashr_i32 s9, s8, 31
	s_mov_b32 s1, exec_lo
	v_cmpx_gt_i32_e64 s7, v0
	s_cbranch_execz .LBB47_3
; %bb.1:
	v_dual_mov_b32 v4, v0 :: v_dual_lshlrev_b32 v1, 2, v0
	s_lshl_b64 s[20:21], s[8:9], 2
	v_mov_b32_e32 v3, 0
	s_add_u32 s0, s16, s20
	s_addc_u32 s19, s17, s21
	v_add_co_u32 v1, s0, s0, v1
	s_delay_alu instid0(VALU_DEP_1)
	v_add_co_ci_u32_e64 v2, null, s19, 0, s0
	s_mov_b32 s19, 0
.LBB47_2:                               ; =>This Inner Loop Header: Depth=1
	v_add_nc_u32_e32 v4, 0x200, v4
	global_store_b32 v[1:2], v3, off
	v_add_co_u32 v1, s0, 0x800, v1
	s_delay_alu instid0(VALU_DEP_1) | instskip(SKIP_2) | instid1(SALU_CYCLE_1)
	v_add_co_ci_u32_e64 v2, s0, 0, v2, s0
	v_cmp_le_i32_e32 vcc_lo, s7, v4
	s_or_b32 s19, vcc_lo, s19
	s_and_not1_b32 exec_lo, exec_lo, s19
	s_cbranch_execnz .LBB47_2
.LBB47_3:
	s_or_b32 exec_lo, exec_lo, s1
	s_mul_i32 s19, s14, s4
	s_mov_b32 s20, exec_lo
	s_waitcnt lgkmcnt(0)
	s_waitcnt_vscnt null, 0x0
	s_barrier
	buffer_gl0_inv
	v_cmpx_gt_i32_e64 s19, v0
	s_cbranch_execz .LBB47_8
; %bb.4:
	v_dual_mov_b32 v6, 0 :: v_dual_lshlrev_b32 v3, 2, v0
	s_lshl_b64 s[0:1], s[8:9], 2
	v_mad_u64_u32 v[1:2], null, v0, s5, 0
	s_add_u32 s21, s16, s0
	s_delay_alu instid0(VALU_DEP_2) | instskip(NEXT) | instid1(VALU_DEP_1)
	v_add_co_u32 v3, s0, s12, v3
	v_add_co_ci_u32_e64 v4, null, s13, 0, s0
	v_mov_b32_e32 v7, v0
	s_addc_u32 s22, s17, s1
	s_mov_b32 s1, 0
	s_mov_b32 s0, s5
	s_sub_i32 s12, 0, s4
	s_lshl_b64 s[4:5], s[0:1], 9
	s_set_inst_prefetch_distance 0x1
	s_branch .LBB47_6
	.p2align	6
.LBB47_5:                               ;   in Loop: Header=BB47_6 Depth=1
	s_or_b32 exec_lo, exec_lo, s0
	v_add_nc_u32_e32 v7, 0x200, v7
	v_add_co_u32 v1, vcc_lo, v1, s4
	v_add_co_ci_u32_e32 v2, vcc_lo, s5, v2, vcc_lo
	s_delay_alu instid0(VALU_DEP_3) | instskip(SKIP_1) | instid1(VALU_DEP_1)
	v_cmp_le_i32_e32 vcc_lo, s19, v7
	v_add_co_u32 v3, s0, 0x800, v3
	v_add_co_ci_u32_e64 v4, s0, 0, v4, s0
	s_or_b32 s1, vcc_lo, s1
	s_delay_alu instid0(SALU_CYCLE_1)
	s_and_not1_b32 exec_lo, exec_lo, s1
	s_cbranch_execz .LBB47_8
.LBB47_6:                               ; =>This Inner Loop Header: Depth=1
	global_load_b32 v8, v[3:4], off
	v_add_nc_u32_e32 v5, v7, v2
	s_delay_alu instid0(VALU_DEP_1) | instskip(NEXT) | instid1(VALU_DEP_1)
	v_lshrrev_b32_e32 v5, s6, v5
	v_cmp_gt_i32_e64 s0, s14, v5
	s_waitcnt vmcnt(0)
	v_cmp_eq_u32_e32 vcc_lo, s18, v8
	s_delay_alu instid0(VALU_DEP_2) | instskip(NEXT) | instid1(SALU_CYCLE_1)
	s_and_b32 s13, vcc_lo, s0
	s_and_saveexec_b32 s0, s13
	s_cbranch_execz .LBB47_5
; %bb.7:                                ;   in Loop: Header=BB47_6 Depth=1
	v_mul_lo_u32 v8, s12, v5
	s_delay_alu instid0(VALU_DEP_1) | instskip(SKIP_1) | instid1(VALU_DEP_2)
	v_add3_u32 v10, v7, v8, 1
	v_lshlrev_b64 v[8:9], 2, v[5:6]
	v_and_b32_e32 v5, 0xffff, v10
	s_delay_alu instid0(VALU_DEP_2) | instskip(NEXT) | instid1(VALU_DEP_3)
	v_add_co_u32 v8, vcc_lo, s21, v8
	v_add_co_ci_u32_e32 v9, vcc_lo, s22, v9, vcc_lo
	global_store_b32 v[8:9], v5, off
	s_branch .LBB47_5
.LBB47_8:
	s_set_inst_prefetch_distance 0x2
	s_or_b32 exec_lo, exec_lo, s20
	s_cmp_eq_u32 s15, 0
	s_waitcnt_vscnt null, 0x0
	s_barrier
	buffer_gl0_inv
	s_cbranch_scc1 .LBB47_19
; %bb.9:
	s_cmp_lt_i32 s14, 1
	s_cbranch_scc1 .LBB47_14
; %bb.10:
	v_mbcnt_lo_u32_b32 v1, -1, 0
	s_add_i32 s0, s7, 0x1ff
	s_lshl_b64 s[4:5], s[8:9], 2
	s_ashr_i32 s1, s0, 31
	v_mov_b32_e32 v3, 0
	v_lshlrev_b32_e32 v1, 2, v1
	s_lshr_b32 s1, s1, 23
	v_mov_b32_e32 v9, v0
	s_add_i32 s0, s0, s1
	s_delay_alu instid0(SALU_CYCLE_1)
	s_ashr_i32 s0, s0, 9
	v_xor_b32_e32 v4, 4, v1
	v_xor_b32_e32 v5, 8, v1
	v_xor_b32_e32 v6, 16, v1
	v_xor_b32_e32 v7, 32, v1
	v_xor_b32_e32 v8, 64, v1
	v_lshlrev_b32_e32 v1, 2, v0
	s_max_i32 s1, s0, 1
	s_add_u32 s0, s16, s4
	s_addc_u32 s4, s17, s5
	s_delay_alu instid0(VALU_DEP_1) | instskip(NEXT) | instid1(VALU_DEP_1)
	v_add_co_u32 v1, s0, s0, v1
	v_add_co_ci_u32_e64 v2, null, s4, 0, s0
	s_set_inst_prefetch_distance 0x1
	s_branch .LBB47_12
	.p2align	6
.LBB47_11:                              ;   in Loop: Header=BB47_12 Depth=1
	s_or_b32 exec_lo, exec_lo, s0
	s_waitcnt vmcnt(0)
	v_cmp_ne_u32_e32 vcc_lo, 0, v10
	v_add_nc_u32_e32 v9, 0x200, v9
	s_add_i32 s1, s1, -1
	s_delay_alu instid0(SALU_CYCLE_1)
	s_cmp_eq_u32 s1, 0
	v_cndmask_b32_e64 v10, 0, 1, vcc_lo
	ds_bpermute_b32 v10, v4, v10
	s_waitcnt lgkmcnt(0)
	v_add_co_ci_u32_e64 v11, s0, 0, v10, vcc_lo
	ds_bpermute_b32 v11, v5, v11
	s_waitcnt lgkmcnt(0)
	v_add_co_ci_u32_e32 v10, vcc_lo, v11, v10, vcc_lo
	v_add_co_u32 v1, vcc_lo, 0x800, v1
	v_add_co_ci_u32_e32 v2, vcc_lo, 0, v2, vcc_lo
	ds_bpermute_b32 v11, v6, v10
	s_waitcnt lgkmcnt(0)
	v_add_nc_u32_e32 v10, v10, v11
	ds_bpermute_b32 v11, v7, v10
	s_waitcnt lgkmcnt(0)
	v_add_nc_u32_e32 v10, v10, v11
	ds_bpermute_b32 v11, v8, v10
	s_waitcnt lgkmcnt(0)
	v_add3_u32 v3, v11, v3, v10
	s_cbranch_scc1 .LBB47_15
.LBB47_12:                              ; =>This Inner Loop Header: Depth=1
	v_mov_b32_e32 v10, 0
	s_mov_b32 s0, exec_lo
	v_cmpx_gt_i32_e64 s7, v9
	s_cbranch_execz .LBB47_11
; %bb.13:                               ;   in Loop: Header=BB47_12 Depth=1
	global_load_b32 v10, v[1:2], off
	s_branch .LBB47_11
.LBB47_14:
	v_mov_b32_e32 v3, 0
.LBB47_15:
	s_set_inst_prefetch_distance 0x2
	v_and_b32_e32 v1, 31, v0
	s_mov_b32 s0, exec_lo
	s_delay_alu instid0(VALU_DEP_1)
	v_cmpx_eq_u32_e32 0, v1
	s_cbranch_execz .LBB47_17
; %bb.16:
	v_lshrrev_b32_e32 v1, 3, v0
	s_delay_alu instid0(VALU_DEP_1)
	v_and_b32_e32 v1, 0x7c, v1
	ds_store_b32 v1, v3
.LBB47_17:
	s_or_b32 exec_lo, exec_lo, s0
	s_waitcnt lgkmcnt(0)
	s_barrier
	buffer_gl0_inv
	s_mov_b32 s0, exec_lo
	v_cmpx_eq_u32_e32 0, v0
	s_cbranch_execz .LBB47_19
; %bb.18:
	v_mov_b32_e32 v8, 0
	s_add_u32 s0, s10, s2
	s_addc_u32 s1, s11, s3
	ds_load_b128 v[0:3], v8
	ds_load_b128 v[4:7], v8 offset:16
	s_waitcnt lgkmcnt(1)
	v_add_nc_u32_e32 v0, v1, v0
	s_delay_alu instid0(VALU_DEP_1) | instskip(NEXT) | instid1(VALU_DEP_1)
	v_add_nc_u32_e32 v0, v0, v2
	v_add_nc_u32_e32 v0, v0, v3
	s_waitcnt lgkmcnt(0)
	s_delay_alu instid0(VALU_DEP_1) | instskip(NEXT) | instid1(VALU_DEP_1)
	v_add_nc_u32_e32 v4, v0, v4
	v_add_nc_u32_e32 v4, v4, v5
	s_delay_alu instid0(VALU_DEP_1) | instskip(NEXT) | instid1(VALU_DEP_1)
	v_add_nc_u32_e32 v4, v4, v6
	v_add_nc_u32_e32 v9, v4, v7
	ds_load_b128 v[0:3], v8 offset:32
	ds_load_b128 v[4:7], v8 offset:48
	s_waitcnt lgkmcnt(1)
	v_add_nc_u32_e32 v0, v9, v0
	s_delay_alu instid0(VALU_DEP_1) | instskip(NEXT) | instid1(VALU_DEP_1)
	v_add_nc_u32_e32 v0, v0, v1
	v_add_nc_u32_e32 v0, v0, v2
	s_delay_alu instid0(VALU_DEP_1) | instskip(SKIP_1) | instid1(VALU_DEP_1)
	v_add_nc_u32_e32 v0, v0, v3
	s_waitcnt lgkmcnt(0)
	v_add_nc_u32_e32 v0, v0, v4
	s_delay_alu instid0(VALU_DEP_1) | instskip(NEXT) | instid1(VALU_DEP_1)
	v_add_nc_u32_e32 v0, v0, v5
	v_add_nc_u32_e32 v0, v0, v6
	s_delay_alu instid0(VALU_DEP_1)
	v_add_nc_u32_e32 v0, v0, v7
	global_store_b32 v8, v0, s[0:1]
.LBB47_19:
	s_nop 0
	s_sendmsg sendmsg(MSG_DEALLOC_VGPRS)
	s_endpgm
	.section	.rodata,"a",@progbits
	.p2align	6, 0x0
	.amdhsa_kernel _ZN5aiter22opus_moe_sorting_entryINS_32MoeSortingMultiPhaseKernel_P0_v2INS_19MoeSortingProblemMpIifiLi1ELb1ELb1ELb1EEEEENS4_5KargsEEEvT0_
		.amdhsa_group_segment_fixed_size 64
		.amdhsa_private_segment_fixed_size 0
		.amdhsa_kernarg_size 72
		.amdhsa_user_sgpr_count 15
		.amdhsa_user_sgpr_dispatch_ptr 0
		.amdhsa_user_sgpr_queue_ptr 0
		.amdhsa_user_sgpr_kernarg_segment_ptr 1
		.amdhsa_user_sgpr_dispatch_id 0
		.amdhsa_user_sgpr_private_segment_size 0
		.amdhsa_wavefront_size32 1
		.amdhsa_uses_dynamic_stack 0
		.amdhsa_enable_private_segment 0
		.amdhsa_system_sgpr_workgroup_id_x 1
		.amdhsa_system_sgpr_workgroup_id_y 0
		.amdhsa_system_sgpr_workgroup_id_z 0
		.amdhsa_system_sgpr_workgroup_info 0
		.amdhsa_system_vgpr_workitem_id 0
		.amdhsa_next_free_vgpr 12
		.amdhsa_next_free_sgpr 23
		.amdhsa_reserve_vcc 1
		.amdhsa_float_round_mode_32 0
		.amdhsa_float_round_mode_16_64 0
		.amdhsa_float_denorm_mode_32 3
		.amdhsa_float_denorm_mode_16_64 3
		.amdhsa_dx10_clamp 1
		.amdhsa_ieee_mode 1
		.amdhsa_fp16_overflow 0
		.amdhsa_workgroup_processor_mode 1
		.amdhsa_memory_ordered 1
		.amdhsa_forward_progress 0
		.amdhsa_shared_vgpr_count 0
		.amdhsa_exception_fp_ieee_invalid_op 0
		.amdhsa_exception_fp_denorm_src 0
		.amdhsa_exception_fp_ieee_div_zero 0
		.amdhsa_exception_fp_ieee_overflow 0
		.amdhsa_exception_fp_ieee_underflow 0
		.amdhsa_exception_fp_ieee_inexact 0
		.amdhsa_exception_int_div_zero 0
	.end_amdhsa_kernel
	.section	.text._ZN5aiter22opus_moe_sorting_entryINS_32MoeSortingMultiPhaseKernel_P0_v2INS_19MoeSortingProblemMpIifiLi1ELb1ELb1ELb1EEEEENS4_5KargsEEEvT0_,"axG",@progbits,_ZN5aiter22opus_moe_sorting_entryINS_32MoeSortingMultiPhaseKernel_P0_v2INS_19MoeSortingProblemMpIifiLi1ELb1ELb1ELb1EEEEENS4_5KargsEEEvT0_,comdat
.Lfunc_end47:
	.size	_ZN5aiter22opus_moe_sorting_entryINS_32MoeSortingMultiPhaseKernel_P0_v2INS_19MoeSortingProblemMpIifiLi1ELb1ELb1ELb1EEEEENS4_5KargsEEEvT0_, .Lfunc_end47-_ZN5aiter22opus_moe_sorting_entryINS_32MoeSortingMultiPhaseKernel_P0_v2INS_19MoeSortingProblemMpIifiLi1ELb1ELb1ELb1EEEEENS4_5KargsEEEvT0_
                                        ; -- End function
	.section	.AMDGPU.csdata,"",@progbits
; Kernel info:
; codeLenInByte = 1120
; NumSgprs: 25
; NumVgprs: 12
; ScratchSize: 0
; MemoryBound: 0
; FloatMode: 240
; IeeeMode: 1
; LDSByteSize: 64 bytes/workgroup (compile time only)
; SGPRBlocks: 3
; VGPRBlocks: 1
; NumSGPRsForWavesPerEU: 25
; NumVGPRsForWavesPerEU: 12
; Occupancy: 16
; WaveLimiterHint : 1
; COMPUTE_PGM_RSRC2:SCRATCH_EN: 0
; COMPUTE_PGM_RSRC2:USER_SGPR: 15
; COMPUTE_PGM_RSRC2:TRAP_HANDLER: 0
; COMPUTE_PGM_RSRC2:TGID_X_EN: 1
; COMPUTE_PGM_RSRC2:TGID_Y_EN: 0
; COMPUTE_PGM_RSRC2:TGID_Z_EN: 0
; COMPUTE_PGM_RSRC2:TIDIG_COMP_CNT: 0
	.section	.text._ZN5aiter22opus_moe_sorting_entryINS_30MoeSortingMultiPhaseKernel_P23INS_19MoeSortingProblemMpIifiLi1ELb1ELb1ELb1EEEEENS4_5KargsEEEvT0_,"axG",@progbits,_ZN5aiter22opus_moe_sorting_entryINS_30MoeSortingMultiPhaseKernel_P23INS_19MoeSortingProblemMpIifiLi1ELb1ELb1ELb1EEEEENS4_5KargsEEEvT0_,comdat
	.protected	_ZN5aiter22opus_moe_sorting_entryINS_30MoeSortingMultiPhaseKernel_P23INS_19MoeSortingProblemMpIifiLi1ELb1ELb1ELb1EEEEENS4_5KargsEEEvT0_ ; -- Begin function _ZN5aiter22opus_moe_sorting_entryINS_30MoeSortingMultiPhaseKernel_P23INS_19MoeSortingProblemMpIifiLi1ELb1ELb1ELb1EEEEENS4_5KargsEEEvT0_
	.globl	_ZN5aiter22opus_moe_sorting_entryINS_30MoeSortingMultiPhaseKernel_P23INS_19MoeSortingProblemMpIifiLi1ELb1ELb1ELb1EEEEENS4_5KargsEEEvT0_
	.p2align	8
	.type	_ZN5aiter22opus_moe_sorting_entryINS_30MoeSortingMultiPhaseKernel_P23INS_19MoeSortingProblemMpIifiLi1ELb1ELb1ELb1EEEEENS4_5KargsEEEvT0_,@function
_ZN5aiter22opus_moe_sorting_entryINS_30MoeSortingMultiPhaseKernel_P23INS_19MoeSortingProblemMpIifiLi1ELb1ELb1ELb1EEEEENS4_5KargsEEEvT0_: ; @_ZN5aiter22opus_moe_sorting_entryINS_30MoeSortingMultiPhaseKernel_P23INS_19MoeSortingProblemMpIifiLi1ELb1ELb1ELb1EEEEENS4_5KargsEEEvT0_
; %bb.0:
	s_mov_b32 s34, s15
	s_clause 0x2
	s_load_b512 s[12:27], s[0:1], 0x0
	s_load_b32 s33, s[0:1], 0x64
	s_load_b256 s[36:43], s[0:1], 0x40
	s_mov_b32 s3, -1
	s_waitcnt lgkmcnt(0)
	s_load_b32 s11, s[18:19], 0x0
	s_cmp_lt_i32 s34, s33
	s_cbranch_scc1 .LBB48_5
; %bb.1:
	s_load_b64 s[2:3], s[0:1], 0x84
	v_mov_b32_e32 v2, 0
	s_mov_b32 s10, exec_lo
	s_waitcnt lgkmcnt(0)
	s_ashr_i32 s4, s2, 31
	s_mul_i32 s5, s3, s11
	s_mul_hi_i32 s3, s3, s11
	s_mul_i32 s4, s5, s4
	s_mul_hi_u32 s6, s5, s2
	s_mul_i32 s3, s3, s2
	s_add_i32 s4, s6, s4
	s_mul_i32 s5, s5, s2
	s_add_i32 s4, s4, s3
	s_sub_i32 s3, s34, s33
	s_ashr_i32 s6, s4, 31
	v_lshl_add_u32 v1, s3, 8, v0
	s_lshr_b32 s2, s6, 28
	s_delay_alu instid0(SALU_CYCLE_1) | instskip(SKIP_1) | instid1(SALU_CYCLE_1)
	s_add_u32 s2, s5, s2
	s_addc_u32 s3, s4, 0
	s_ashr_i64 s[4:5], s[2:3], 4
	s_mov_b32 s3, 0
	v_cmpx_gt_i64_e64 s[4:5], v[1:2]
	s_cbranch_execz .LBB48_4
; %bb.2:
	s_load_b32 s2, s[0:1], 0x90
	v_lshlrev_b64 v[7:8], 4, v[1:2]
	v_dual_mov_b32 v6, v2 :: v_dual_mov_b32 v5, v1
	v_mov_b32_e32 v1, v2
	v_mov_b32_e32 v3, v2
	;; [unrolled: 1-line block ×3, first 2 shown]
	v_add_co_u32 v7, vcc_lo, s40, v7
	v_add_co_ci_u32_e32 v8, vcc_lo, s41, v8, vcc_lo
	s_mov_b32 s18, 0
	s_waitcnt lgkmcnt(0)
	s_sub_i32 s2, s2, s33
	s_delay_alu instid0(SALU_CYCLE_1) | instskip(NEXT) | instid1(SALU_CYCLE_1)
	s_lshl_b32 s6, s2, 8
	s_ashr_i32 s7, s6, 31
	s_delay_alu instid0(SALU_CYCLE_1)
	s_lshl_b64 s[8:9], s[6:7], 4
.LBB48_3:                               ; =>This Inner Loop Header: Depth=1
	v_add_co_u32 v5, vcc_lo, v5, s6
	v_add_co_ci_u32_e32 v6, vcc_lo, s7, v6, vcc_lo
	global_store_b128 v[7:8], v[1:4], off
	v_add_co_u32 v7, s2, v7, s8
	v_cmp_le_i64_e32 vcc_lo, s[4:5], v[5:6]
	v_add_co_ci_u32_e64 v8, s2, s9, v8, s2
	s_or_b32 s18, vcc_lo, s18
	s_delay_alu instid0(SALU_CYCLE_1)
	s_and_not1_b32 exec_lo, exec_lo, s18
	s_cbranch_execnz .LBB48_3
.LBB48_4:
	s_or_b32 exec_lo, exec_lo, s10
.LBB48_5:
	s_delay_alu instid0(SALU_CYCLE_1)
	s_and_not1_b32 vcc_lo, exec_lo, s3
	s_cbranch_vccnz .LBB48_50
; %bb.6:
	s_load_b128 s[28:31], s[0:1], 0x6c
	s_lshl_b32 s0, s33, 2
	v_lshrrev_b32_e32 v5, 5, v0
	s_add_i32 s18, s0, 0
	v_and_b32_e32 v6, 31, v0
	s_addk_i32 s18, 0x50
	s_cmp_lt_i32 s33, 1
	s_mov_b32 s19, 0
	s_cbranch_scc1 .LBB48_22
; %bb.7:
	v_mbcnt_lo_u32_b32 v1, -1, 0
	s_add_i32 s7, s33, 0xff
	s_waitcnt lgkmcnt(0)
	s_add_i32 s35, s28, -1
	s_lshr_b32 s40, s7, 8
	s_cmp_lg_u64 s[42:43], 0
	v_dual_mov_b32 v9, 0 :: v_dual_lshlrev_b32 v2, 2, v1
	v_cmp_eq_u32_e64 s0, 31, v6
	v_lshl_add_u32 v7, v5, 2, 0
	v_cmp_gt_u32_e64 s1, 32, v0
	s_delay_alu instid0(VALU_DEP_4)
	v_and_b32_e32 v2, 64, v2
	v_cmp_lt_u32_e64 s2, 63, v0
	v_cmp_lt_u32_e64 s3, 0x5f, v0
	;; [unrolled: 1-line block ×6, first 2 shown]
	v_add_nc_u32_e32 v8, -4, v2
	v_cmp_lt_u32_e64 s8, 0xdf, v0
	v_cmp_eq_u32_e64 s9, 0xff, v0
	v_mov_b32_e32 v10, 0
	v_mov_b32_e32 v2, 0
	s_cselect_b32 s41, -1, 0
	s_cmp_eq_u32 s34, 0
	s_cselect_b32 s44, -1, 0
	s_add_i32 s45, s18, 4
.LBB48_8:                               ; =>This Loop Header: Depth=1
                                        ;     Child Loop BB48_19 Depth 2
	v_lshl_add_u32 v3, s19, 8, v0
	v_dual_mov_b32 v4, 0 :: v_dual_mov_b32 v1, 0
	s_delay_alu instid0(VALU_DEP_2)
	v_cmp_gt_i32_e32 vcc_lo, s33, v3
	s_and_saveexec_b32 s46, vcc_lo
	s_cbranch_execz .LBB48_10
; %bb.9:                                ;   in Loop: Header=BB48_8 Depth=1
	v_ashrrev_i32_e32 v4, 31, v3
	s_delay_alu instid0(VALU_DEP_1) | instskip(NEXT) | instid1(VALU_DEP_1)
	v_lshlrev_b64 v[11:12], 2, v[3:4]
	v_add_co_u32 v13, s10, s22, v11
	s_delay_alu instid0(VALU_DEP_1) | instskip(SKIP_1) | instid1(VALU_DEP_1)
	v_add_co_ci_u32_e64 v14, s10, s23, v12, s10
	v_add_co_u32 v11, s10, s16, v11
	v_add_co_ci_u32_e64 v12, s10, s17, v12, s10
	global_load_b32 v1, v[13:14], off
	global_load_b32 v4, v[11:12], off
.LBB48_10:                              ;   in Loop: Header=BB48_8 Depth=1
	s_or_b32 exec_lo, exec_lo, s46
	s_waitcnt vmcnt(1)
	v_add_nc_u32_e32 v1, s35, v1
	s_waitcnt vmcnt(0)
	v_cmp_eq_u32_e64 s10, 0, v4
	v_add_nc_u32_dpp v15, v4, v4 row_shr:1 row_mask:0xf bank_mask:0xf bound_ctrl:1
	s_waitcnt_vscnt null, 0x0
	s_barrier
	v_mul_hi_u32 v11, v1, s29
	buffer_gl0_inv
	v_add_nc_u32_dpp v16, v15, v15 row_shr:2 row_mask:0xf bank_mask:0xf bound_ctrl:1
	s_delay_alu instid0(VALU_DEP_1) | instskip(SKIP_1) | instid1(VALU_DEP_2)
	v_add_nc_u32_dpp v16, v16, v16 row_shr:4 row_mask:0xf bank_mask:0xf bound_ctrl:1
	v_add_nc_u32_e32 v1, v1, v11
	v_add_nc_u32_dpp v18, v16, v16 row_shr:8 row_mask:0xf bank_mask:0xf bound_ctrl:1
	s_delay_alu instid0(VALU_DEP_2) | instskip(SKIP_2) | instid1(VALU_DEP_1)
	v_lshrrev_b32_e32 v11, s30, v1
	ds_bpermute_b32 v19, v8, v18
	v_cndmask_b32_e64 v17, v11, 0, s10
	v_mov_b32_dpp v12, v17 row_shr:1 row_mask:0xf bank_mask:0xf bound_ctrl:1
	s_delay_alu instid0(VALU_DEP_1) | instskip(NEXT) | instid1(VALU_DEP_1)
	v_add_nc_u32_e32 v1, v17, v12
	v_mov_b32_dpp v13, v1 row_shr:2 row_mask:0xf bank_mask:0xf bound_ctrl:1
	s_waitcnt lgkmcnt(0)
	v_cndmask_b32_e64 v19, 0, v19, s7
	s_delay_alu instid0(VALU_DEP_2) | instskip(NEXT) | instid1(VALU_DEP_1)
	v_add_nc_u32_e32 v1, v1, v13
	v_mov_b32_dpp v14, v1 row_shr:4 row_mask:0xf bank_mask:0xf bound_ctrl:1
	s_delay_alu instid0(VALU_DEP_1) | instskip(NEXT) | instid1(VALU_DEP_1)
	v_add_nc_u32_e32 v1, v1, v14
	v_mov_b32_dpp v15, v1 row_shr:8 row_mask:0xf bank_mask:0xf bound_ctrl:1
	s_delay_alu instid0(VALU_DEP_1) | instskip(SKIP_3) | instid1(VALU_DEP_1)
	v_add_nc_u32_e32 v1, v1, v15
	ds_bpermute_b32 v16, v8, v1
	s_waitcnt lgkmcnt(0)
	v_cndmask_b32_e64 v16, 0, v16, s7
	v_add_nc_u32_e32 v20, v1, v16
	v_add_nc_u32_e32 v1, v19, v18
	s_and_saveexec_b32 s46, s0
	s_cbranch_execz .LBB48_12
; %bb.11:                               ;   in Loop: Header=BB48_8 Depth=1
	ds_store_2addr_b32 v7, v20, v1 offset0:4 offset1:12
.LBB48_12:                              ;   in Loop: Header=BB48_8 Depth=1
	s_or_b32 exec_lo, exec_lo, s46
	s_waitcnt lgkmcnt(0)
	s_barrier
	buffer_gl0_inv
	ds_load_2addr_b32 v[18:19], v9 offset0:4 offset1:5
	ds_load_2addr_b32 v[21:22], v9 offset0:12 offset1:13
	;; [unrolled: 1-line block ×7, first 2 shown]
	s_waitcnt lgkmcnt(6)
	v_cndmask_b32_e64 v18, v18, 0, s1
	s_waitcnt lgkmcnt(5)
	v_cndmask_b32_e64 v33, v21, 0, s1
	v_cndmask_b32_e64 v19, 0, v19, s2
	;; [unrolled: 1-line block ×3, first 2 shown]
	s_waitcnt lgkmcnt(4)
	v_cndmask_b32_e64 v21, 0, v23, s3
	s_waitcnt lgkmcnt(3)
	v_cndmask_b32_e64 v25, 0, v25, s3
	v_add3_u32 v20, v20, v10, v18
	v_add3_u32 v1, v1, v2, v33
	v_cndmask_b32_e64 v22, 0, v24, s4
	v_cndmask_b32_e64 v26, 0, v26, s4
	s_waitcnt lgkmcnt(2)
	v_cndmask_b32_e64 v23, 0, v27, s5
	s_waitcnt lgkmcnt(1)
	v_cndmask_b32_e64 v2, 0, v29, s5
	v_add3_u32 v20, v20, v19, v21
	v_add3_u32 v1, v1, v34, v25
	v_cndmask_b32_e64 v24, 0, v28, s6
	v_cndmask_b32_e64 v27, 0, v30, s6
	s_waitcnt lgkmcnt(0)
	v_cndmask_b32_e64 v25, 0, v31, s8
	v_cndmask_b32_e64 v28, 0, v32, s8
	v_add3_u32 v20, v20, v22, v23
	v_add3_u32 v1, v1, v26, v2
	s_delay_alu instid0(VALU_DEP_2) | instskip(NEXT) | instid1(VALU_DEP_2)
	v_add3_u32 v26, v20, v24, v25
	v_add3_u32 v20, v1, v27, v28
	s_and_saveexec_b32 s46, s9
	s_cbranch_execz .LBB48_14
; %bb.13:                               ;   in Loop: Header=BB48_8 Depth=1
	ds_store_2addr_b32 v9, v26, v20 offset0:2 offset1:3
.LBB48_14:                              ;   in Loop: Header=BB48_8 Depth=1
	s_or_b32 exec_lo, exec_lo, s46
	s_waitcnt lgkmcnt(0)
	s_barrier
	buffer_gl0_inv
	ds_load_2addr_b32 v[1:2], v9 offset0:2 offset1:3
	v_sub_nc_u32_e32 v20, v20, v4
	s_and_saveexec_b32 s46, vcc_lo
	s_cbranch_execz .LBB48_17
; %bb.15:                               ;   in Loop: Header=BB48_8 Depth=1
	v_sub_nc_u32_e32 v17, v26, v17
	v_lshl_add_u32 v26, v3, 2, 0
	s_and_not1_b32 vcc_lo, exec_lo, s41
	s_delay_alu instid0(VALU_DEP_2)
	v_mul_lo_u32 v17, v17, s28
	ds_store_b32 v26, v17 offset:80
	s_cbranch_vccnz .LBB48_17
; %bb.16:                               ;   in Loop: Header=BB48_8 Depth=1
	v_cndmask_b32_e64 v17, v20, -1, s10
	v_lshl_add_u32 v3, v3, 2, s45
	ds_store_b32 v3, v17
.LBB48_17:                              ;   in Loop: Header=BB48_8 Depth=1
	s_or_b32 exec_lo, exec_lo, s46
	v_cmp_ne_u32_e32 vcc_lo, 0, v4
	v_cmp_lt_i32_e64 s10, 0, v11
	s_and_b32 s46, s44, vcc_lo
	s_delay_alu instid0(VALU_DEP_1) | instid1(SALU_CYCLE_1)
	s_and_b32 s10, s46, s10
	s_delay_alu instid0(SALU_CYCLE_1)
	s_and_saveexec_b32 s46, s10
	s_cbranch_execz .LBB48_20
; %bb.18:                               ;   in Loop: Header=BB48_8 Depth=1
	v_add3_u32 v3, v16, v19, v21
	s_mov_b32 s47, 0
	s_delay_alu instid0(VALU_DEP_1) | instskip(NEXT) | instid1(VALU_DEP_1)
	v_add3_u32 v3, v3, v22, v23
	v_add3_u32 v3, v3, v24, v25
	s_delay_alu instid0(VALU_DEP_1) | instskip(NEXT) | instid1(VALU_DEP_1)
	v_add3_u32 v3, v3, v18, v12
	v_add3_u32 v3, v3, v13, v14
	s_delay_alu instid0(VALU_DEP_1)
	v_add3_u32 v3, v3, v15, v10
.LBB48_19:                              ;   Parent Loop BB48_8 Depth=1
                                        ; =>  This Inner Loop Header: Depth=2
	s_delay_alu instid0(VALU_DEP_1) | instskip(SKIP_1) | instid1(VALU_DEP_2)
	v_ashrrev_i32_e32 v4, 31, v3
	v_add_nc_u32_e32 v11, -1, v11
	v_lshlrev_b64 v[12:13], 2, v[3:4]
	s_delay_alu instid0(VALU_DEP_2) | instskip(SKIP_2) | instid1(VALU_DEP_3)
	v_cmp_eq_u32_e32 vcc_lo, 0, v11
	v_add_nc_u32_e32 v3, 1, v3
	s_or_b32 s47, vcc_lo, s47
	v_add_co_u32 v12, s10, s26, v12
	s_delay_alu instid0(VALU_DEP_1)
	v_add_co_ci_u32_e64 v13, s10, s27, v13, s10
	global_store_b32 v[12:13], v20, off
	s_and_not1_b32 exec_lo, exec_lo, s47
	s_cbranch_execnz .LBB48_19
.LBB48_20:                              ;   in Loop: Header=BB48_8 Depth=1
	s_or_b32 exec_lo, exec_lo, s46
	s_add_i32 s19, s19, 1
	s_delay_alu instid0(SALU_CYCLE_1)
	s_cmp_eq_u32 s19, s40
	s_cbranch_scc1 .LBB48_23
; %bb.21:                               ;   in Loop: Header=BB48_8 Depth=1
	s_waitcnt lgkmcnt(0)
	v_mov_b32_e32 v10, v1
	s_branch .LBB48_8
.LBB48_22:
	v_mov_b32_e32 v1, 0
.LBB48_23:
	s_mov_b32 s0, exec_lo
	v_cmpx_eq_u32_e32 0, v0
	s_cbranch_execz .LBB48_27
; %bb.24:
	s_waitcnt lgkmcnt(0)
	v_mul_lo_u32 v1, v1, s28
	s_cmp_lg_u32 s34, 0
	s_cbranch_scc1 .LBB48_26
; %bb.25:
	v_dual_mov_b32 v3, 0 :: v_dual_mov_b32 v2, s11
	global_store_b64 v3, v[1:2], s[24:25]
.LBB48_26:
	v_mov_b32_e32 v2, s18
	ds_store_b32 v2, v1
.LBB48_27:
	s_or_b32 exec_lo, exec_lo, s0
	s_cmp_eq_u64 s[42:43], 0
	s_waitcnt lgkmcnt(0)
	s_waitcnt_vscnt null, 0x0
	s_cselect_b32 s0, -1, 0
	s_cmp_lg_u32 s34, 0
	s_barrier
	s_cselect_b32 s1, -1, 0
	buffer_gl0_inv
	s_or_b32 s0, s1, s0
	s_delay_alu instid0(SALU_CYCLE_1)
	s_and_b32 vcc_lo, exec_lo, s0
	s_cbranch_vccnz .LBB48_34
; %bb.28:
	s_mul_i32 s1, s11, s31
	s_mov_b32 s2, exec_lo
	v_cmpx_gt_i32_e64 s1, v0
	s_cbranch_execz .LBB48_33
; %bb.29:
	v_lshlrev_b32_e32 v3, 2, v0
	v_mov_b32_e32 v7, v0
	s_add_i32 s18, s18, 4
	s_mov_b32 s3, 0
	s_delay_alu instid0(VALU_DEP_2) | instskip(NEXT) | instid1(VALU_DEP_1)
	v_add_co_u32 v1, s0, s12, v3
	v_add_co_ci_u32_e64 v2, null, s13, 0, s0
	v_add_co_u32 v3, s0, s42, v3
	s_delay_alu instid0(VALU_DEP_1)
	v_add_co_ci_u32_e64 v4, null, s43, 0, s0
	s_set_inst_prefetch_distance 0x1
	s_branch .LBB48_31
	.p2align	6
.LBB48_30:                              ;   in Loop: Header=BB48_31 Depth=1
	s_or_b32 exec_lo, exec_lo, s0
	v_add_nc_u32_e32 v7, 0x100, v7
	v_add_co_u32 v1, vcc_lo, 0x400, v1
	v_add_co_ci_u32_e32 v2, vcc_lo, 0, v2, vcc_lo
	s_waitcnt lgkmcnt(0)
	global_store_b32 v[3:4], v9, off
	v_cmp_le_i32_e32 vcc_lo, s1, v7
	v_add_co_u32 v3, s0, 0x400, v3
	s_delay_alu instid0(VALU_DEP_1) | instskip(SKIP_1) | instid1(SALU_CYCLE_1)
	v_add_co_ci_u32_e64 v4, s0, 0, v4, s0
	s_or_b32 s3, vcc_lo, s3
	s_and_not1_b32 exec_lo, exec_lo, s3
	s_cbranch_execz .LBB48_33
.LBB48_31:                              ; =>This Inner Loop Header: Depth=1
	global_load_b32 v8, v[1:2], off
	v_mov_b32_e32 v9, -1
	s_waitcnt vmcnt(0)
	v_cmp_lt_i32_e32 vcc_lo, -1, v8
	v_cmp_gt_i32_e64 s0, s33, v8
	s_delay_alu instid0(VALU_DEP_1) | instskip(NEXT) | instid1(SALU_CYCLE_1)
	s_and_b32 s4, vcc_lo, s0
	s_and_saveexec_b32 s0, s4
	s_cbranch_execz .LBB48_30
; %bb.32:                               ;   in Loop: Header=BB48_31 Depth=1
	v_lshl_add_u32 v8, v8, 2, s18
	ds_load_b32 v9, v8
	s_branch .LBB48_30
.LBB48_33:
	s_set_inst_prefetch_distance 0x2
	s_or_b32 exec_lo, exec_lo, s2
.LBB48_34:
	s_lshl_b32 s0, s34, 2
	s_delay_alu instid0(SALU_CYCLE_1) | instskip(NEXT) | instid1(SALU_CYCLE_1)
	s_add_i32 s0, s0, 0
	v_mov_b32_e32 v1, s0
	ds_load_2addr_b32 v[1:2], v1 offset0:20 offset1:21
	s_waitcnt lgkmcnt(0)
	v_cmp_eq_u32_e32 vcc_lo, v1, v2
	s_cbranch_vccnz .LBB48_50
; %bb.35:
	s_ashr_i32 s35, s34, 31
	v_mov_b32_e32 v11, 0
	s_lshl_b64 s[0:1], s[34:35], 2
	s_delay_alu instid0(SALU_CYCLE_1)
	s_add_u32 s0, s16, s0
	s_addc_u32 s1, s17, s1
	global_load_b32 v3, v11, s[0:1]
	s_waitcnt vmcnt(0)
	v_cmp_eq_u32_e32 vcc_lo, 0, v3
	s_cbranch_vccnz .LBB48_50
; %bb.36:
	s_cmp_lt_i32 s11, 1
	s_cbranch_scc1 .LBB48_47
; %bb.37:
	v_mbcnt_lo_u32_b32 v3, -1, 0
	s_add_i32 s1, s11, 31
	v_lshl_add_u32 v8, v5, 2, 0
	s_and_b32 s2, s1, 0x7fffffe0
	v_cmp_eq_u32_e32 vcc_lo, 31, v6
	v_dual_mov_b32 v5, 0 :: v_dual_lshlrev_b32 v4, 2, v3
	s_mul_i32 s4, s2, s34
	s_add_i32 s3, s2, 0xff
	v_cmp_lt_u32_e64 s2, 15, v3
	s_delay_alu instid0(VALU_DEP_2) | instskip(SKIP_3) | instid1(VALU_DEP_3)
	v_dual_mov_b32 v11, 0 :: v_dual_and_b32 v4, 64, v4
	s_ashr_i32 s5, s4, 31
	v_cmp_gt_u32_e64 s0, 32, v0
	v_cmp_lt_u32_e64 s1, 63, v0
	v_dual_mov_b32 v10, 0 :: v_dual_add_nc_u32 v9, -4, v4
	v_mad_u64_u32 v[3:4], null, v0, s31, -1
	s_lshr_b32 s12, s3, 8
	s_lshl_b64 s[16:17], s[4:5], 2
	v_cmp_lt_u32_e64 s3, 0x5f, v0
	v_cmp_lt_u32_e64 s4, 0x7f, v0
	;; [unrolled: 1-line block ×5, first 2 shown]
	v_cmp_eq_u32_e64 s8, 0xff, v0
	v_mov_b32_e32 v6, v0
	s_add_u32 s13, s20, s16
	s_addc_u32 s16, s21, s17
	s_lshl_b32 s17, s31, 8
	s_branch .LBB48_39
.LBB48_38:                              ;   in Loop: Header=BB48_39 Depth=1
	s_or_b32 exec_lo, exec_lo, s10
	v_add_nc_u32_e32 v6, 0x100, v6
	v_add_nc_u32_e32 v3, s17, v3
	s_add_i32 s12, s12, -1
	s_delay_alu instid0(SALU_CYCLE_1)
	s_cmp_eq_u32 s12, 0
	s_cbranch_scc1 .LBB48_47
.LBB48_39:                              ; =>This Inner Loop Header: Depth=1
	v_mov_b32_e32 v4, 0
	s_mov_b32 s10, exec_lo
	v_cmpx_gt_i32_e64 s11, v6
	s_cbranch_execz .LBB48_41
; %bb.40:                               ;   in Loop: Header=BB48_39 Depth=1
	v_ashrrev_i32_e32 v7, 31, v6
	s_delay_alu instid0(VALU_DEP_1) | instskip(NEXT) | instid1(VALU_DEP_1)
	v_lshlrev_b64 v[12:13], 2, v[6:7]
	v_add_co_u32 v12, s9, s13, v12
	s_delay_alu instid0(VALU_DEP_1)
	v_add_co_ci_u32_e64 v13, s9, s16, v13, s9
	global_load_b32 v4, v[12:13], off
.LBB48_41:                              ;   in Loop: Header=BB48_39 Depth=1
	s_or_b32 exec_lo, exec_lo, s10
	s_waitcnt vmcnt(0)
	v_add_co_u32 v7, s9, v4, -1
	s_delay_alu instid0(VALU_DEP_1)
	v_cndmask_b32_e64 v12, 0, 1, s9
	s_waitcnt_vscnt null, 0x0
	s_waitcnt lgkmcnt(0)
	s_barrier
	buffer_gl0_inv
	v_mov_b32_dpp v13, v12 row_shr:1 row_mask:0xf bank_mask:0xf bound_ctrl:1
	s_delay_alu instid0(VALU_DEP_1) | instskip(NEXT) | instid1(VALU_DEP_1)
	v_add_co_ci_u32_e64 v14, s10, 0, v13, s9
	v_mov_b32_dpp v14, v14 row_shr:2 row_mask:0xf bank_mask:0xf bound_ctrl:1
	s_delay_alu instid0(VALU_DEP_1) | instskip(NEXT) | instid1(VALU_DEP_1)
	v_add_co_ci_u32_e64 v13, s10, v14, v13, s9
	v_add_nc_u32_dpp v13, v13, v13 row_shr:4 row_mask:0xf bank_mask:0xf bound_ctrl:1
	s_delay_alu instid0(VALU_DEP_1) | instskip(SKIP_3) | instid1(VALU_DEP_1)
	v_add_nc_u32_dpp v13, v13, v13 row_shr:8 row_mask:0xf bank_mask:0xf bound_ctrl:1
	ds_bpermute_b32 v14, v9, v13
	s_waitcnt lgkmcnt(0)
	v_cndmask_b32_e64 v14, 0, v14, s2
	v_add_nc_u32_e32 v13, v13, v14
	s_and_saveexec_b32 s10, vcc_lo
	s_cbranch_execz .LBB48_43
; %bb.42:                               ;   in Loop: Header=BB48_39 Depth=1
	ds_store_b32 v8, v13 offset:16
.LBB48_43:                              ;   in Loop: Header=BB48_39 Depth=1
	s_or_b32 exec_lo, exec_lo, s10
	s_waitcnt lgkmcnt(0)
	s_barrier
	buffer_gl0_inv
	ds_load_2addr_b32 v[14:15], v10 offset0:4 offset1:5
	ds_load_2addr_b32 v[16:17], v10 offset0:6 offset1:7
	;; [unrolled: 1-line block ×3, first 2 shown]
	ds_load_b32 v20, v10 offset:40
	s_waitcnt lgkmcnt(3)
	v_cndmask_b32_e64 v14, v14, 0, s0
	v_cndmask_b32_e64 v15, 0, v15, s1
	s_waitcnt lgkmcnt(2)
	v_cndmask_b32_e64 v16, 0, v16, s3
	s_delay_alu instid0(VALU_DEP_3) | instskip(SKIP_3) | instid1(VALU_DEP_3)
	v_add3_u32 v11, v13, v11, v14
	v_cndmask_b32_e64 v13, 0, v17, s4
	s_waitcnt lgkmcnt(1)
	v_cndmask_b32_e64 v14, 0, v18, s5
	v_add3_u32 v11, v11, v15, v16
	v_cndmask_b32_e64 v15, 0, v19, s6
	s_waitcnt lgkmcnt(0)
	v_cndmask_b32_e64 v16, 0, v20, s7
	s_delay_alu instid0(VALU_DEP_3) | instskip(NEXT) | instid1(VALU_DEP_1)
	v_add3_u32 v11, v11, v13, v14
	v_add3_u32 v13, v11, v15, v16
	s_and_saveexec_b32 s10, s8
	s_cbranch_execz .LBB48_45
; %bb.44:                               ;   in Loop: Header=BB48_39 Depth=1
	ds_store_b32 v10, v13
.LBB48_45:                              ;   in Loop: Header=BB48_39 Depth=1
	s_or_b32 exec_lo, exec_lo, s10
	s_waitcnt lgkmcnt(0)
	s_barrier
	buffer_gl0_inv
	ds_load_b32 v11, v10
	s_and_saveexec_b32 s10, s9
	s_cbranch_execz .LBB48_38
; %bb.46:                               ;   in Loop: Header=BB48_39 Depth=1
	v_add_nc_u32_e32 v4, v4, v3
	v_sub_nc_u32_e32 v12, v1, v12
	v_perm_b32 v7, v7, v6, 0x4020100
	s_delay_alu instid0(VALU_DEP_3) | instskip(NEXT) | instid1(VALU_DEP_3)
	v_lshlrev_b64 v[14:15], 2, v[4:5]
	v_add_nc_u32_e32 v12, v12, v13
	s_delay_alu instid0(VALU_DEP_1) | instskip(NEXT) | instid1(VALU_DEP_3)
	v_ashrrev_i32_e32 v13, 31, v12
	v_add_co_u32 v14, s9, s14, v14
	s_delay_alu instid0(VALU_DEP_1) | instskip(NEXT) | instid1(VALU_DEP_3)
	v_add_co_ci_u32_e64 v15, s9, s15, v15, s9
	v_lshlrev_b64 v[12:13], 2, v[12:13]
	global_load_b32 v4, v[14:15], off
	v_add_co_u32 v14, s9, s36, v12
	s_delay_alu instid0(VALU_DEP_1) | instskip(SKIP_1) | instid1(VALU_DEP_1)
	v_add_co_ci_u32_e64 v15, s9, s37, v13, s9
	v_add_co_u32 v12, s9, s38, v12
	v_add_co_ci_u32_e64 v13, s9, s39, v13, s9
	global_store_b32 v[14:15], v7, off
	s_waitcnt vmcnt(0)
	global_store_b32 v[12:13], v4, off
	s_branch .LBB48_38
.LBB48_47:
	s_waitcnt lgkmcnt(0)
	v_add3_u32 v0, v11, v1, v0
	s_mov_b32 s0, exec_lo
	s_delay_alu instid0(VALU_DEP_1)
	v_cmpx_lt_i32_e64 v0, v2
	s_cbranch_execz .LBB48_50
; %bb.48:
	v_ashrrev_i32_e32 v1, 31, v0
	s_and_b32 s0, s11, 0xffffff
	s_lshl_b32 s1, s31, 24
	v_mov_b32_e32 v7, 0
	s_or_b32 s0, s0, s1
	v_lshlrev_b64 v[5:6], 2, v[0:1]
	v_mov_b32_e32 v1, s0
	s_mov_b32 s1, 0
	s_delay_alu instid0(VALU_DEP_2) | instskip(NEXT) | instid1(VALU_DEP_3)
	v_add_co_u32 v3, vcc_lo, s36, v5
	v_add_co_ci_u32_e32 v4, vcc_lo, s37, v6, vcc_lo
	v_add_co_u32 v5, vcc_lo, s38, v5
	v_add_co_ci_u32_e32 v6, vcc_lo, s39, v6, vcc_lo
	.p2align	6
.LBB48_49:                              ; =>This Inner Loop Header: Depth=1
	v_add_nc_u32_e32 v0, 0x100, v0
	global_store_b32 v[3:4], v1, off
	global_store_b32 v[5:6], v7, off
	v_add_co_u32 v3, vcc_lo, 0x400, v3
	v_add_co_ci_u32_e32 v4, vcc_lo, 0, v4, vcc_lo
	v_cmp_ge_i32_e32 vcc_lo, v0, v2
	v_add_co_u32 v5, s0, 0x400, v5
	s_delay_alu instid0(VALU_DEP_1) | instskip(SKIP_1) | instid1(SALU_CYCLE_1)
	v_add_co_ci_u32_e64 v6, s0, 0, v6, s0
	s_or_b32 s1, vcc_lo, s1
	s_and_not1_b32 exec_lo, exec_lo, s1
	s_cbranch_execnz .LBB48_49
.LBB48_50:
	s_nop 0
	s_sendmsg sendmsg(MSG_DEALLOC_VGPRS)
	s_endpgm
	.section	.rodata,"a",@progbits
	.p2align	6, 0x0
	.amdhsa_kernel _ZN5aiter22opus_moe_sorting_entryINS_30MoeSortingMultiPhaseKernel_P23INS_19MoeSortingProblemMpIifiLi1ELb1ELb1ELb1EEEEENS4_5KargsEEEvT0_
		.amdhsa_group_segment_fixed_size 0
		.amdhsa_private_segment_fixed_size 0
		.amdhsa_kernarg_size 400
		.amdhsa_user_sgpr_count 15
		.amdhsa_user_sgpr_dispatch_ptr 0
		.amdhsa_user_sgpr_queue_ptr 0
		.amdhsa_user_sgpr_kernarg_segment_ptr 1
		.amdhsa_user_sgpr_dispatch_id 0
		.amdhsa_user_sgpr_private_segment_size 0
		.amdhsa_wavefront_size32 1
		.amdhsa_uses_dynamic_stack 0
		.amdhsa_enable_private_segment 0
		.amdhsa_system_sgpr_workgroup_id_x 1
		.amdhsa_system_sgpr_workgroup_id_y 0
		.amdhsa_system_sgpr_workgroup_id_z 0
		.amdhsa_system_sgpr_workgroup_info 0
		.amdhsa_system_vgpr_workitem_id 0
		.amdhsa_next_free_vgpr 35
		.amdhsa_next_free_sgpr 48
		.amdhsa_reserve_vcc 1
		.amdhsa_float_round_mode_32 0
		.amdhsa_float_round_mode_16_64 0
		.amdhsa_float_denorm_mode_32 3
		.amdhsa_float_denorm_mode_16_64 3
		.amdhsa_dx10_clamp 1
		.amdhsa_ieee_mode 1
		.amdhsa_fp16_overflow 0
		.amdhsa_workgroup_processor_mode 1
		.amdhsa_memory_ordered 1
		.amdhsa_forward_progress 0
		.amdhsa_shared_vgpr_count 0
		.amdhsa_exception_fp_ieee_invalid_op 0
		.amdhsa_exception_fp_denorm_src 0
		.amdhsa_exception_fp_ieee_div_zero 0
		.amdhsa_exception_fp_ieee_overflow 0
		.amdhsa_exception_fp_ieee_underflow 0
		.amdhsa_exception_fp_ieee_inexact 0
		.amdhsa_exception_int_div_zero 0
	.end_amdhsa_kernel
	.section	.text._ZN5aiter22opus_moe_sorting_entryINS_30MoeSortingMultiPhaseKernel_P23INS_19MoeSortingProblemMpIifiLi1ELb1ELb1ELb1EEEEENS4_5KargsEEEvT0_,"axG",@progbits,_ZN5aiter22opus_moe_sorting_entryINS_30MoeSortingMultiPhaseKernel_P23INS_19MoeSortingProblemMpIifiLi1ELb1ELb1ELb1EEEEENS4_5KargsEEEvT0_,comdat
.Lfunc_end48:
	.size	_ZN5aiter22opus_moe_sorting_entryINS_30MoeSortingMultiPhaseKernel_P23INS_19MoeSortingProblemMpIifiLi1ELb1ELb1ELb1EEEEENS4_5KargsEEEvT0_, .Lfunc_end48-_ZN5aiter22opus_moe_sorting_entryINS_30MoeSortingMultiPhaseKernel_P23INS_19MoeSortingProblemMpIifiLi1ELb1ELb1ELb1EEEEENS4_5KargsEEEvT0_
                                        ; -- End function
	.section	.AMDGPU.csdata,"",@progbits
; Kernel info:
; codeLenInByte = 2932
; NumSgprs: 50
; NumVgprs: 35
; ScratchSize: 0
; MemoryBound: 0
; FloatMode: 240
; IeeeMode: 1
; LDSByteSize: 0 bytes/workgroup (compile time only)
; SGPRBlocks: 6
; VGPRBlocks: 4
; NumSGPRsForWavesPerEU: 50
; NumVGPRsForWavesPerEU: 35
; Occupancy: 16
; WaveLimiterHint : 1
; COMPUTE_PGM_RSRC2:SCRATCH_EN: 0
; COMPUTE_PGM_RSRC2:USER_SGPR: 15
; COMPUTE_PGM_RSRC2:TRAP_HANDLER: 0
; COMPUTE_PGM_RSRC2:TGID_X_EN: 1
; COMPUTE_PGM_RSRC2:TGID_Y_EN: 0
; COMPUTE_PGM_RSRC2:TGID_Z_EN: 0
; COMPUTE_PGM_RSRC2:TIDIG_COMP_CNT: 0
	.section	.text._ZN5aiter22opus_moe_sorting_entryINS_32MoeSortingMultiPhaseKernel_P0_v2INS_19MoeSortingProblemMpIifiLi1ELb1ELb0ELb1EEEEENS4_5KargsEEEvT0_,"axG",@progbits,_ZN5aiter22opus_moe_sorting_entryINS_32MoeSortingMultiPhaseKernel_P0_v2INS_19MoeSortingProblemMpIifiLi1ELb1ELb0ELb1EEEEENS4_5KargsEEEvT0_,comdat
	.protected	_ZN5aiter22opus_moe_sorting_entryINS_32MoeSortingMultiPhaseKernel_P0_v2INS_19MoeSortingProblemMpIifiLi1ELb1ELb0ELb1EEEEENS4_5KargsEEEvT0_ ; -- Begin function _ZN5aiter22opus_moe_sorting_entryINS_32MoeSortingMultiPhaseKernel_P0_v2INS_19MoeSortingProblemMpIifiLi1ELb1ELb0ELb1EEEEENS4_5KargsEEEvT0_
	.globl	_ZN5aiter22opus_moe_sorting_entryINS_32MoeSortingMultiPhaseKernel_P0_v2INS_19MoeSortingProblemMpIifiLi1ELb1ELb0ELb1EEEEENS4_5KargsEEEvT0_
	.p2align	8
	.type	_ZN5aiter22opus_moe_sorting_entryINS_32MoeSortingMultiPhaseKernel_P0_v2INS_19MoeSortingProblemMpIifiLi1ELb1ELb0ELb1EEEEENS4_5KargsEEEvT0_,@function
_ZN5aiter22opus_moe_sorting_entryINS_32MoeSortingMultiPhaseKernel_P0_v2INS_19MoeSortingProblemMpIifiLi1ELb1ELb0ELb1EEEEENS4_5KargsEEEvT0_: ; @_ZN5aiter22opus_moe_sorting_entryINS_32MoeSortingMultiPhaseKernel_P0_v2INS_19MoeSortingProblemMpIifiLi1ELb1ELb0ELb1EEEEENS4_5KargsEEEvT0_
; %bb.0:
	s_mov_b32 s2, s15
	s_clause 0x4
	s_load_b128 s[4:7], s[0:1], 0x18
	s_load_b64 s[14:15], s[0:1], 0x0
	s_load_b64 s[10:11], s[0:1], 0x10
	s_load_b32 s3, s[0:1], 0x28
	s_load_b64 s[8:9], s[0:1], 0x38
	v_lshlrev_b32_e32 v7, 2, v0
	s_mov_b32 s1, exec_lo
	s_waitcnt lgkmcnt(0)
	s_mul_i32 s12, s5, s2
	s_delay_alu instid0(SALU_CYCLE_1)
	s_ashr_i32 s13, s12, 31
	v_cmpx_gt_i32_e64 s5, v0
	s_cbranch_execz .LBB49_3
; %bb.1:
	s_lshl_b64 s[16:17], s[12:13], 2
	v_dual_mov_b32 v3, 0 :: v_dual_mov_b32 v4, v0
	s_add_u32 s0, s10, s16
	s_addc_u32 s16, s11, s17
	v_add_co_u32 v1, s0, s0, v7
	s_delay_alu instid0(VALU_DEP_1)
	v_add_co_ci_u32_e64 v2, null, s16, 0, s0
	s_mov_b32 s16, 0
.LBB49_2:                               ; =>This Inner Loop Header: Depth=1
	v_add_nc_u32_e32 v4, 0x200, v4
	global_store_b32 v[1:2], v3, off
	v_add_co_u32 v1, s0, 0x800, v1
	s_delay_alu instid0(VALU_DEP_1) | instskip(SKIP_2) | instid1(SALU_CYCLE_1)
	v_add_co_ci_u32_e64 v2, s0, 0, v2, s0
	v_cmp_le_i32_e32 vcc_lo, s5, v4
	s_or_b32 s16, vcc_lo, s16
	s_and_not1_b32 exec_lo, exec_lo, s16
	s_cbranch_execnz .LBB49_2
.LBB49_3:
	s_or_b32 exec_lo, exec_lo, s1
	s_mul_i32 s4, s6, s4
	s_mov_b32 s16, exec_lo
	s_waitcnt_vscnt null, 0x0
	s_barrier
	buffer_gl0_inv
	v_cmpx_gt_i32_e64 s4, v0
	s_cbranch_execz .LBB49_8
; %bb.4:
	v_mad_u64_u32 v[1:2], null, v0, s7, 0
	v_add_co_u32 v3, s0, s14, v7
	s_lshl_b64 s[18:19], s[12:13], 2
	v_add_co_ci_u32_e64 v4, null, s15, 0, s0
	v_mov_b32_e32 v6, 0
	v_mov_b32_e32 v8, v0
	s_mov_b32 s1, 0
	s_mov_b32 s0, s7
	s_add_u32 s17, s10, s18
	s_addc_u32 s18, s11, s19
	s_sub_i32 s14, 0, s6
	s_lshl_b64 s[6:7], s[0:1], 9
	s_set_inst_prefetch_distance 0x1
	s_branch .LBB49_6
	.p2align	6
.LBB49_5:                               ;   in Loop: Header=BB49_6 Depth=1
	s_or_b32 exec_lo, exec_lo, s0
	v_add_nc_u32_e32 v8, 0x200, v8
	v_add_co_u32 v1, vcc_lo, v1, s6
	v_add_co_ci_u32_e32 v2, vcc_lo, s7, v2, vcc_lo
	s_delay_alu instid0(VALU_DEP_3) | instskip(SKIP_1) | instid1(VALU_DEP_1)
	v_cmp_le_i32_e32 vcc_lo, s4, v8
	v_add_co_u32 v3, s0, 0x800, v3
	v_add_co_ci_u32_e64 v4, s0, 0, v4, s0
	s_or_b32 s1, vcc_lo, s1
	s_delay_alu instid0(SALU_CYCLE_1)
	s_and_not1_b32 exec_lo, exec_lo, s1
	s_cbranch_execz .LBB49_8
.LBB49_6:                               ; =>This Inner Loop Header: Depth=1
	global_load_b32 v5, v[3:4], off
	s_mov_b32 s0, exec_lo
	s_waitcnt vmcnt(0)
	v_cmpx_eq_u32_e64 s2, v5
	s_cbranch_execz .LBB49_5
; %bb.7:                                ;   in Loop: Header=BB49_6 Depth=1
	v_add_nc_u32_e32 v5, v8, v2
	s_delay_alu instid0(VALU_DEP_1) | instskip(NEXT) | instid1(VALU_DEP_1)
	v_lshrrev_b32_e32 v5, s3, v5
	v_mul_lo_u32 v9, s14, v5
	s_delay_alu instid0(VALU_DEP_1) | instskip(SKIP_1) | instid1(VALU_DEP_2)
	v_add3_u32 v11, v8, v9, 1
	v_lshlrev_b64 v[9:10], 2, v[5:6]
	v_and_b32_e32 v5, 0xffff, v11
	s_delay_alu instid0(VALU_DEP_2) | instskip(NEXT) | instid1(VALU_DEP_3)
	v_add_co_u32 v9, vcc_lo, s17, v9
	v_add_co_ci_u32_e32 v10, vcc_lo, s18, v10, vcc_lo
	global_store_b32 v[9:10], v5, off
	s_branch .LBB49_5
.LBB49_8:
	s_set_inst_prefetch_distance 0x2
	s_or_b32 exec_lo, exec_lo, s16
	s_cmp_lt_i32 s5, 1
	s_waitcnt_vscnt null, 0x0
	s_barrier
	buffer_gl0_inv
	s_cbranch_scc1 .LBB49_13
; %bb.9:
	v_mbcnt_lo_u32_b32 v1, -1, 0
	s_add_i32 s0, s5, 0x1ff
	s_lshl_b64 s[6:7], s[12:13], 2
	s_lshr_b32 s1, s0, 9
	s_add_u32 s0, s10, s6
	v_lshlrev_b32_e32 v1, 2, v1
	s_addc_u32 s3, s11, s7
	v_mov_b32_e32 v3, 0
	s_delay_alu instid0(VALU_DEP_2)
	v_xor_b32_e32 v4, 4, v1
	v_xor_b32_e32 v5, 8, v1
	;; [unrolled: 1-line block ×5, first 2 shown]
	v_add_co_u32 v1, s0, s0, v7
	s_delay_alu instid0(VALU_DEP_1)
	v_add_co_ci_u32_e64 v2, null, s3, 0, s0
	v_mov_b32_e32 v7, v0
	s_set_inst_prefetch_distance 0x1
	s_branch .LBB49_11
	.p2align	6
.LBB49_10:                              ;   in Loop: Header=BB49_11 Depth=1
	s_or_b32 exec_lo, exec_lo, s0
	s_waitcnt vmcnt(0)
	v_cmp_ne_u32_e32 vcc_lo, 0, v10
	v_add_nc_u32_e32 v7, 0x200, v7
	s_add_i32 s1, s1, -1
	s_delay_alu instid0(SALU_CYCLE_1)
	s_cmp_eq_u32 s1, 0
	v_cndmask_b32_e64 v10, 0, 1, vcc_lo
	ds_bpermute_b32 v10, v4, v10
	s_waitcnt lgkmcnt(0)
	v_add_co_ci_u32_e64 v11, s0, 0, v10, vcc_lo
	ds_bpermute_b32 v11, v5, v11
	s_waitcnt lgkmcnt(0)
	v_add_co_ci_u32_e32 v10, vcc_lo, v11, v10, vcc_lo
	v_add_co_u32 v1, vcc_lo, 0x800, v1
	v_add_co_ci_u32_e32 v2, vcc_lo, 0, v2, vcc_lo
	ds_bpermute_b32 v11, v6, v10
	s_waitcnt lgkmcnt(0)
	v_add_nc_u32_e32 v10, v10, v11
	ds_bpermute_b32 v11, v8, v10
	s_waitcnt lgkmcnt(0)
	v_add_nc_u32_e32 v10, v10, v11
	ds_bpermute_b32 v11, v9, v10
	s_waitcnt lgkmcnt(0)
	v_add3_u32 v3, v11, v3, v10
	s_cbranch_scc1 .LBB49_14
.LBB49_11:                              ; =>This Inner Loop Header: Depth=1
	v_mov_b32_e32 v10, 0
	s_mov_b32 s0, exec_lo
	v_cmpx_gt_i32_e64 s5, v7
	s_cbranch_execz .LBB49_10
; %bb.12:                               ;   in Loop: Header=BB49_11 Depth=1
	global_load_b32 v10, v[1:2], off
	s_branch .LBB49_10
.LBB49_13:
	v_mov_b32_e32 v3, 0
.LBB49_14:
	s_set_inst_prefetch_distance 0x2
	v_and_b32_e32 v1, 31, v0
	s_mov_b32 s0, exec_lo
	s_delay_alu instid0(VALU_DEP_1)
	v_cmpx_eq_u32_e32 0, v1
	s_cbranch_execz .LBB49_16
; %bb.15:
	v_lshrrev_b32_e32 v1, 3, v0
	s_delay_alu instid0(VALU_DEP_1)
	v_and_b32_e32 v1, 0x7c, v1
	ds_store_b32 v1, v3
.LBB49_16:
	s_or_b32 exec_lo, exec_lo, s0
	s_waitcnt lgkmcnt(0)
	s_barrier
	buffer_gl0_inv
	s_mov_b32 s0, exec_lo
	v_cmpx_eq_u32_e32 0, v0
	s_cbranch_execz .LBB49_18
; %bb.17:
	v_mov_b32_e32 v8, 0
	s_ashr_i32 s3, s2, 31
	ds_load_b128 v[0:3], v8
	ds_load_b128 v[4:7], v8 offset:16
	s_lshl_b64 s[0:1], s[2:3], 2
	s_delay_alu instid0(SALU_CYCLE_1) | instskip(SKIP_3) | instid1(VALU_DEP_1)
	s_add_u32 s0, s8, s0
	s_addc_u32 s1, s9, s1
	s_waitcnt lgkmcnt(1)
	v_add_nc_u32_e32 v0, v1, v0
	v_add_nc_u32_e32 v0, v0, v2
	s_delay_alu instid0(VALU_DEP_1) | instskip(SKIP_1) | instid1(VALU_DEP_1)
	v_add_nc_u32_e32 v0, v0, v3
	s_waitcnt lgkmcnt(0)
	v_add_nc_u32_e32 v4, v0, v4
	s_delay_alu instid0(VALU_DEP_1) | instskip(NEXT) | instid1(VALU_DEP_1)
	v_add_nc_u32_e32 v4, v4, v5
	v_add_nc_u32_e32 v4, v4, v6
	s_delay_alu instid0(VALU_DEP_1) | instskip(SKIP_4) | instid1(VALU_DEP_1)
	v_add_nc_u32_e32 v9, v4, v7
	ds_load_b128 v[0:3], v8 offset:32
	ds_load_b128 v[4:7], v8 offset:48
	s_waitcnt lgkmcnt(1)
	v_add_nc_u32_e32 v0, v9, v0
	v_add_nc_u32_e32 v0, v0, v1
	s_delay_alu instid0(VALU_DEP_1) | instskip(NEXT) | instid1(VALU_DEP_1)
	v_add_nc_u32_e32 v0, v0, v2
	v_add_nc_u32_e32 v0, v0, v3
	s_waitcnt lgkmcnt(0)
	s_delay_alu instid0(VALU_DEP_1) | instskip(NEXT) | instid1(VALU_DEP_1)
	v_add_nc_u32_e32 v0, v0, v4
	v_add_nc_u32_e32 v0, v0, v5
	s_delay_alu instid0(VALU_DEP_1) | instskip(NEXT) | instid1(VALU_DEP_1)
	v_add_nc_u32_e32 v0, v0, v6
	v_add_nc_u32_e32 v0, v0, v7
	global_store_b32 v8, v0, s[0:1]
.LBB49_18:
	s_nop 0
	s_sendmsg sendmsg(MSG_DEALLOC_VGPRS)
	s_endpgm
	.section	.rodata,"a",@progbits
	.p2align	6, 0x0
	.amdhsa_kernel _ZN5aiter22opus_moe_sorting_entryINS_32MoeSortingMultiPhaseKernel_P0_v2INS_19MoeSortingProblemMpIifiLi1ELb1ELb0ELb1EEEEENS4_5KargsEEEvT0_
		.amdhsa_group_segment_fixed_size 64
		.amdhsa_private_segment_fixed_size 0
		.amdhsa_kernarg_size 72
		.amdhsa_user_sgpr_count 15
		.amdhsa_user_sgpr_dispatch_ptr 0
		.amdhsa_user_sgpr_queue_ptr 0
		.amdhsa_user_sgpr_kernarg_segment_ptr 1
		.amdhsa_user_sgpr_dispatch_id 0
		.amdhsa_user_sgpr_private_segment_size 0
		.amdhsa_wavefront_size32 1
		.amdhsa_uses_dynamic_stack 0
		.amdhsa_enable_private_segment 0
		.amdhsa_system_sgpr_workgroup_id_x 1
		.amdhsa_system_sgpr_workgroup_id_y 0
		.amdhsa_system_sgpr_workgroup_id_z 0
		.amdhsa_system_sgpr_workgroup_info 0
		.amdhsa_system_vgpr_workitem_id 0
		.amdhsa_next_free_vgpr 12
		.amdhsa_next_free_sgpr 20
		.amdhsa_reserve_vcc 1
		.amdhsa_float_round_mode_32 0
		.amdhsa_float_round_mode_16_64 0
		.amdhsa_float_denorm_mode_32 3
		.amdhsa_float_denorm_mode_16_64 3
		.amdhsa_dx10_clamp 1
		.amdhsa_ieee_mode 1
		.amdhsa_fp16_overflow 0
		.amdhsa_workgroup_processor_mode 1
		.amdhsa_memory_ordered 1
		.amdhsa_forward_progress 0
		.amdhsa_shared_vgpr_count 0
		.amdhsa_exception_fp_ieee_invalid_op 0
		.amdhsa_exception_fp_denorm_src 0
		.amdhsa_exception_fp_ieee_div_zero 0
		.amdhsa_exception_fp_ieee_overflow 0
		.amdhsa_exception_fp_ieee_underflow 0
		.amdhsa_exception_fp_ieee_inexact 0
		.amdhsa_exception_int_div_zero 0
	.end_amdhsa_kernel
	.section	.text._ZN5aiter22opus_moe_sorting_entryINS_32MoeSortingMultiPhaseKernel_P0_v2INS_19MoeSortingProblemMpIifiLi1ELb1ELb0ELb1EEEEENS4_5KargsEEEvT0_,"axG",@progbits,_ZN5aiter22opus_moe_sorting_entryINS_32MoeSortingMultiPhaseKernel_P0_v2INS_19MoeSortingProblemMpIifiLi1ELb1ELb0ELb1EEEEENS4_5KargsEEEvT0_,comdat
.Lfunc_end49:
	.size	_ZN5aiter22opus_moe_sorting_entryINS_32MoeSortingMultiPhaseKernel_P0_v2INS_19MoeSortingProblemMpIifiLi1ELb1ELb0ELb1EEEEENS4_5KargsEEEvT0_, .Lfunc_end49-_ZN5aiter22opus_moe_sorting_entryINS_32MoeSortingMultiPhaseKernel_P0_v2INS_19MoeSortingProblemMpIifiLi1ELb1ELb0ELb1EEEEENS4_5KargsEEEvT0_
                                        ; -- End function
	.section	.AMDGPU.csdata,"",@progbits
; Kernel info:
; codeLenInByte = 1032
; NumSgprs: 22
; NumVgprs: 12
; ScratchSize: 0
; MemoryBound: 0
; FloatMode: 240
; IeeeMode: 1
; LDSByteSize: 64 bytes/workgroup (compile time only)
; SGPRBlocks: 2
; VGPRBlocks: 1
; NumSGPRsForWavesPerEU: 22
; NumVGPRsForWavesPerEU: 12
; Occupancy: 16
; WaveLimiterHint : 0
; COMPUTE_PGM_RSRC2:SCRATCH_EN: 0
; COMPUTE_PGM_RSRC2:USER_SGPR: 15
; COMPUTE_PGM_RSRC2:TRAP_HANDLER: 0
; COMPUTE_PGM_RSRC2:TGID_X_EN: 1
; COMPUTE_PGM_RSRC2:TGID_Y_EN: 0
; COMPUTE_PGM_RSRC2:TGID_Z_EN: 0
; COMPUTE_PGM_RSRC2:TIDIG_COMP_CNT: 0
	.section	.text._ZN5aiter22opus_moe_sorting_entryINS_30MoeSortingMultiPhaseKernel_P23INS_19MoeSortingProblemMpIifiLi1ELb1ELb0ELb1EEEEENS4_5KargsEEEvT0_,"axG",@progbits,_ZN5aiter22opus_moe_sorting_entryINS_30MoeSortingMultiPhaseKernel_P23INS_19MoeSortingProblemMpIifiLi1ELb1ELb0ELb1EEEEENS4_5KargsEEEvT0_,comdat
	.protected	_ZN5aiter22opus_moe_sorting_entryINS_30MoeSortingMultiPhaseKernel_P23INS_19MoeSortingProblemMpIifiLi1ELb1ELb0ELb1EEEEENS4_5KargsEEEvT0_ ; -- Begin function _ZN5aiter22opus_moe_sorting_entryINS_30MoeSortingMultiPhaseKernel_P23INS_19MoeSortingProblemMpIifiLi1ELb1ELb0ELb1EEEEENS4_5KargsEEEvT0_
	.globl	_ZN5aiter22opus_moe_sorting_entryINS_30MoeSortingMultiPhaseKernel_P23INS_19MoeSortingProblemMpIifiLi1ELb1ELb0ELb1EEEEENS4_5KargsEEEvT0_
	.p2align	8
	.type	_ZN5aiter22opus_moe_sorting_entryINS_30MoeSortingMultiPhaseKernel_P23INS_19MoeSortingProblemMpIifiLi1ELb1ELb0ELb1EEEEENS4_5KargsEEEvT0_,@function
_ZN5aiter22opus_moe_sorting_entryINS_30MoeSortingMultiPhaseKernel_P23INS_19MoeSortingProblemMpIifiLi1ELb1ELb0ELb1EEEEENS4_5KargsEEEvT0_: ; @_ZN5aiter22opus_moe_sorting_entryINS_30MoeSortingMultiPhaseKernel_P23INS_19MoeSortingProblemMpIifiLi1ELb1ELb0ELb1EEEEENS4_5KargsEEEvT0_
; %bb.0:
	s_mov_b32 s34, s15
	s_clause 0x1
	s_load_b128 s[28:31], s[0:1], 0x60
	s_load_b512 s[12:27], s[0:1], 0x20
	s_mov_b32 s3, -1
	s_waitcnt lgkmcnt(0)
	s_cmp_lt_i32 s34, s29
	s_cbranch_scc1 .LBB50_5
; %bb.1:
	s_load_b64 s[2:3], s[0:1], 0x84
	v_mov_b32_e32 v2, 0
	s_mov_b32 s10, exec_lo
	s_waitcnt lgkmcnt(0)
	s_ashr_i32 s4, s2, 31
	s_mul_i32 s5, s3, s28
	s_mul_hi_i32 s3, s3, s28
	s_mul_i32 s4, s5, s4
	s_mul_hi_u32 s6, s5, s2
	s_mul_i32 s3, s3, s2
	s_add_i32 s4, s6, s4
	s_mul_i32 s5, s5, s2
	s_add_i32 s4, s4, s3
	s_sub_i32 s3, s34, s29
	s_ashr_i32 s6, s4, 31
	v_lshl_add_u32 v1, s3, 8, v0
	s_lshr_b32 s2, s6, 28
	s_delay_alu instid0(SALU_CYCLE_1) | instskip(SKIP_1) | instid1(SALU_CYCLE_1)
	s_add_u32 s2, s5, s2
	s_addc_u32 s3, s4, 0
	s_ashr_i64 s[4:5], s[2:3], 4
	s_mov_b32 s3, 0
	v_cmpx_gt_i64_e64 s[4:5], v[1:2]
	s_cbranch_execz .LBB50_4
; %bb.2:
	s_load_b32 s2, s[0:1], 0x90
	v_lshlrev_b64 v[7:8], 4, v[1:2]
	v_dual_mov_b32 v6, v2 :: v_dual_mov_b32 v5, v1
	v_mov_b32_e32 v1, v2
	v_mov_b32_e32 v3, v2
	;; [unrolled: 1-line block ×3, first 2 shown]
	v_add_co_u32 v7, vcc_lo, s24, v7
	v_add_co_ci_u32_e32 v8, vcc_lo, s25, v8, vcc_lo
	s_mov_b32 s11, 0
	s_waitcnt lgkmcnt(0)
	s_sub_i32 s2, s2, s29
	s_delay_alu instid0(SALU_CYCLE_1) | instskip(NEXT) | instid1(SALU_CYCLE_1)
	s_lshl_b32 s6, s2, 8
	s_ashr_i32 s7, s6, 31
	s_delay_alu instid0(SALU_CYCLE_1)
	s_lshl_b64 s[8:9], s[6:7], 4
.LBB50_3:                               ; =>This Inner Loop Header: Depth=1
	v_add_co_u32 v5, vcc_lo, v5, s6
	v_add_co_ci_u32_e32 v6, vcc_lo, s7, v6, vcc_lo
	global_store_b128 v[7:8], v[1:4], off
	v_add_co_u32 v7, s2, v7, s8
	v_cmp_le_i64_e32 vcc_lo, s[4:5], v[5:6]
	v_add_co_ci_u32_e64 v8, s2, s9, v8, s2
	s_or_b32 s11, vcc_lo, s11
	s_delay_alu instid0(SALU_CYCLE_1)
	s_and_not1_b32 exec_lo, exec_lo, s11
	s_cbranch_execnz .LBB50_3
.LBB50_4:
	s_or_b32 exec_lo, exec_lo, s10
.LBB50_5:
	s_delay_alu instid0(SALU_CYCLE_1)
	s_and_not1_b32 vcc_lo, exec_lo, s3
	s_cbranch_vccnz .LBB50_50
; %bb.6:
	s_clause 0x2
	s_load_b128 s[36:39], s[0:1], 0x70
	s_load_b128 s[40:43], s[0:1], 0x0
	s_load_b64 s[24:25], s[0:1], 0x10
	s_lshl_b32 s0, s29, 2
	v_lshrrev_b32_e32 v5, 5, v0
	s_add_i32 s11, s0, 0
	v_and_b32_e32 v6, 31, v0
	s_addk_i32 s11, 0x50
	s_cmp_lt_i32 s29, 1
	s_mov_b32 s33, 0
	s_cbranch_scc1 .LBB50_22
; %bb.7:
	v_mbcnt_lo_u32_b32 v1, -1, 0
	s_add_i32 s7, s29, 0xff
	s_add_i32 s35, s31, -1
	s_waitcnt lgkmcnt(0)
	s_lshr_b32 s39, s7, 8
	s_cmp_lg_u64 s[26:27], 0
	v_dual_mov_b32 v9, 0 :: v_dual_lshlrev_b32 v2, 2, v1
	v_cmp_eq_u32_e64 s0, 31, v6
	v_lshl_add_u32 v7, v5, 2, 0
	v_cmp_gt_u32_e64 s1, 32, v0
	s_delay_alu instid0(VALU_DEP_4)
	v_and_b32_e32 v2, 64, v2
	v_cmp_lt_u32_e64 s2, 63, v0
	v_cmp_lt_u32_e64 s3, 0x5f, v0
	;; [unrolled: 1-line block ×6, first 2 shown]
	v_add_nc_u32_e32 v8, -4, v2
	v_cmp_lt_u32_e64 s8, 0xdf, v0
	v_cmp_eq_u32_e64 s9, 0xff, v0
	v_mov_b32_e32 v10, 0
	v_mov_b32_e32 v2, 0
	s_cselect_b32 s44, -1, 0
	s_cmp_eq_u32 s34, 0
	s_cselect_b32 s45, -1, 0
	s_add_i32 s46, s11, 4
.LBB50_8:                               ; =>This Loop Header: Depth=1
                                        ;     Child Loop BB50_19 Depth 2
	v_lshl_add_u32 v3, s33, 8, v0
	v_dual_mov_b32 v4, 0 :: v_dual_mov_b32 v1, 0
	s_delay_alu instid0(VALU_DEP_2)
	v_cmp_gt_i32_e32 vcc_lo, s29, v3
	s_and_saveexec_b32 s47, vcc_lo
	s_cbranch_execz .LBB50_10
; %bb.9:                                ;   in Loop: Header=BB50_8 Depth=1
	v_ashrrev_i32_e32 v4, 31, v3
	s_delay_alu instid0(VALU_DEP_1) | instskip(NEXT) | instid1(VALU_DEP_1)
	v_lshlrev_b64 v[11:12], 2, v[3:4]
	v_add_co_u32 v13, s10, s14, v11
	s_delay_alu instid0(VALU_DEP_1) | instskip(SKIP_1) | instid1(VALU_DEP_1)
	v_add_co_ci_u32_e64 v14, s10, s15, v12, s10
	v_add_co_u32 v11, s10, s24, v11
	v_add_co_ci_u32_e64 v12, s10, s25, v12, s10
	global_load_b32 v1, v[13:14], off
	global_load_b32 v4, v[11:12], off
.LBB50_10:                              ;   in Loop: Header=BB50_8 Depth=1
	s_or_b32 exec_lo, exec_lo, s47
	s_waitcnt vmcnt(1)
	v_add_nc_u32_e32 v1, s35, v1
	s_waitcnt vmcnt(0)
	v_cmp_eq_u32_e64 s10, 0, v4
	v_add_nc_u32_dpp v15, v4, v4 row_shr:1 row_mask:0xf bank_mask:0xf bound_ctrl:1
	s_waitcnt_vscnt null, 0x0
	s_barrier
	v_mul_hi_u32 v11, v1, s36
	buffer_gl0_inv
	v_add_nc_u32_dpp v16, v15, v15 row_shr:2 row_mask:0xf bank_mask:0xf bound_ctrl:1
	s_delay_alu instid0(VALU_DEP_1) | instskip(SKIP_1) | instid1(VALU_DEP_2)
	v_add_nc_u32_dpp v16, v16, v16 row_shr:4 row_mask:0xf bank_mask:0xf bound_ctrl:1
	v_add_nc_u32_e32 v1, v1, v11
	v_add_nc_u32_dpp v18, v16, v16 row_shr:8 row_mask:0xf bank_mask:0xf bound_ctrl:1
	s_delay_alu instid0(VALU_DEP_2) | instskip(SKIP_2) | instid1(VALU_DEP_1)
	v_lshrrev_b32_e32 v11, s37, v1
	ds_bpermute_b32 v19, v8, v18
	v_cndmask_b32_e64 v17, v11, 0, s10
	v_mov_b32_dpp v12, v17 row_shr:1 row_mask:0xf bank_mask:0xf bound_ctrl:1
	s_delay_alu instid0(VALU_DEP_1) | instskip(NEXT) | instid1(VALU_DEP_1)
	v_add_nc_u32_e32 v1, v17, v12
	v_mov_b32_dpp v13, v1 row_shr:2 row_mask:0xf bank_mask:0xf bound_ctrl:1
	s_waitcnt lgkmcnt(0)
	v_cndmask_b32_e64 v19, 0, v19, s7
	s_delay_alu instid0(VALU_DEP_2) | instskip(NEXT) | instid1(VALU_DEP_1)
	v_add_nc_u32_e32 v1, v1, v13
	v_mov_b32_dpp v14, v1 row_shr:4 row_mask:0xf bank_mask:0xf bound_ctrl:1
	s_delay_alu instid0(VALU_DEP_1) | instskip(NEXT) | instid1(VALU_DEP_1)
	v_add_nc_u32_e32 v1, v1, v14
	v_mov_b32_dpp v15, v1 row_shr:8 row_mask:0xf bank_mask:0xf bound_ctrl:1
	s_delay_alu instid0(VALU_DEP_1) | instskip(SKIP_3) | instid1(VALU_DEP_1)
	v_add_nc_u32_e32 v1, v1, v15
	ds_bpermute_b32 v16, v8, v1
	s_waitcnt lgkmcnt(0)
	v_cndmask_b32_e64 v16, 0, v16, s7
	v_add_nc_u32_e32 v20, v1, v16
	v_add_nc_u32_e32 v1, v19, v18
	s_and_saveexec_b32 s47, s0
	s_cbranch_execz .LBB50_12
; %bb.11:                               ;   in Loop: Header=BB50_8 Depth=1
	ds_store_2addr_b32 v7, v20, v1 offset0:4 offset1:12
.LBB50_12:                              ;   in Loop: Header=BB50_8 Depth=1
	s_or_b32 exec_lo, exec_lo, s47
	s_waitcnt lgkmcnt(0)
	s_barrier
	buffer_gl0_inv
	ds_load_2addr_b32 v[18:19], v9 offset0:4 offset1:5
	ds_load_2addr_b32 v[21:22], v9 offset0:12 offset1:13
	;; [unrolled: 1-line block ×7, first 2 shown]
	s_waitcnt lgkmcnt(6)
	v_cndmask_b32_e64 v18, v18, 0, s1
	s_waitcnt lgkmcnt(5)
	v_cndmask_b32_e64 v33, v21, 0, s1
	v_cndmask_b32_e64 v19, 0, v19, s2
	;; [unrolled: 1-line block ×3, first 2 shown]
	s_waitcnt lgkmcnt(4)
	v_cndmask_b32_e64 v21, 0, v23, s3
	s_waitcnt lgkmcnt(3)
	v_cndmask_b32_e64 v25, 0, v25, s3
	v_add3_u32 v20, v20, v10, v18
	v_add3_u32 v1, v1, v2, v33
	v_cndmask_b32_e64 v22, 0, v24, s4
	v_cndmask_b32_e64 v26, 0, v26, s4
	s_waitcnt lgkmcnt(2)
	v_cndmask_b32_e64 v23, 0, v27, s5
	s_waitcnt lgkmcnt(1)
	v_cndmask_b32_e64 v2, 0, v29, s5
	v_add3_u32 v20, v20, v19, v21
	v_add3_u32 v1, v1, v34, v25
	v_cndmask_b32_e64 v24, 0, v28, s6
	v_cndmask_b32_e64 v27, 0, v30, s6
	s_waitcnt lgkmcnt(0)
	v_cndmask_b32_e64 v25, 0, v31, s8
	v_cndmask_b32_e64 v28, 0, v32, s8
	v_add3_u32 v20, v20, v22, v23
	v_add3_u32 v1, v1, v26, v2
	s_delay_alu instid0(VALU_DEP_2) | instskip(NEXT) | instid1(VALU_DEP_2)
	v_add3_u32 v26, v20, v24, v25
	v_add3_u32 v20, v1, v27, v28
	s_and_saveexec_b32 s47, s9
	s_cbranch_execz .LBB50_14
; %bb.13:                               ;   in Loop: Header=BB50_8 Depth=1
	ds_store_2addr_b32 v9, v26, v20 offset0:2 offset1:3
.LBB50_14:                              ;   in Loop: Header=BB50_8 Depth=1
	s_or_b32 exec_lo, exec_lo, s47
	s_waitcnt lgkmcnt(0)
	s_barrier
	buffer_gl0_inv
	ds_load_2addr_b32 v[1:2], v9 offset0:2 offset1:3
	v_sub_nc_u32_e32 v20, v20, v4
	s_and_saveexec_b32 s47, vcc_lo
	s_cbranch_execz .LBB50_17
; %bb.15:                               ;   in Loop: Header=BB50_8 Depth=1
	v_sub_nc_u32_e32 v17, v26, v17
	v_lshl_add_u32 v26, v3, 2, 0
	s_and_not1_b32 vcc_lo, exec_lo, s44
	s_delay_alu instid0(VALU_DEP_2)
	v_mul_lo_u32 v17, v17, s31
	ds_store_b32 v26, v17 offset:80
	s_cbranch_vccnz .LBB50_17
; %bb.16:                               ;   in Loop: Header=BB50_8 Depth=1
	v_cndmask_b32_e64 v17, v20, -1, s10
	v_lshl_add_u32 v3, v3, 2, s46
	ds_store_b32 v3, v17
.LBB50_17:                              ;   in Loop: Header=BB50_8 Depth=1
	s_or_b32 exec_lo, exec_lo, s47
	v_cmp_ne_u32_e32 vcc_lo, 0, v4
	v_cmp_lt_i32_e64 s10, 0, v11
	s_and_b32 s47, s45, vcc_lo
	s_delay_alu instid0(VALU_DEP_1) | instid1(SALU_CYCLE_1)
	s_and_b32 s10, s47, s10
	s_delay_alu instid0(SALU_CYCLE_1)
	s_and_saveexec_b32 s47, s10
	s_cbranch_execz .LBB50_20
; %bb.18:                               ;   in Loop: Header=BB50_8 Depth=1
	v_add3_u32 v3, v16, v19, v21
	s_mov_b32 s48, 0
	s_delay_alu instid0(VALU_DEP_1) | instskip(NEXT) | instid1(VALU_DEP_1)
	v_add3_u32 v3, v3, v22, v23
	v_add3_u32 v3, v3, v24, v25
	s_delay_alu instid0(VALU_DEP_1) | instskip(NEXT) | instid1(VALU_DEP_1)
	v_add3_u32 v3, v3, v18, v12
	v_add3_u32 v3, v3, v13, v14
	s_delay_alu instid0(VALU_DEP_1)
	v_add3_u32 v3, v3, v15, v10
.LBB50_19:                              ;   Parent Loop BB50_8 Depth=1
                                        ; =>  This Inner Loop Header: Depth=2
	s_delay_alu instid0(VALU_DEP_1) | instskip(SKIP_1) | instid1(VALU_DEP_2)
	v_ashrrev_i32_e32 v4, 31, v3
	v_add_nc_u32_e32 v11, -1, v11
	v_lshlrev_b64 v[12:13], 2, v[3:4]
	s_delay_alu instid0(VALU_DEP_2) | instskip(SKIP_2) | instid1(VALU_DEP_3)
	v_cmp_eq_u32_e32 vcc_lo, 0, v11
	v_add_nc_u32_e32 v3, 1, v3
	s_or_b32 s48, vcc_lo, s48
	v_add_co_u32 v12, s10, s18, v12
	s_delay_alu instid0(VALU_DEP_1)
	v_add_co_ci_u32_e64 v13, s10, s19, v13, s10
	global_store_b32 v[12:13], v20, off
	s_and_not1_b32 exec_lo, exec_lo, s48
	s_cbranch_execnz .LBB50_19
.LBB50_20:                              ;   in Loop: Header=BB50_8 Depth=1
	s_or_b32 exec_lo, exec_lo, s47
	s_add_i32 s33, s33, 1
	s_delay_alu instid0(SALU_CYCLE_1)
	s_cmp_eq_u32 s33, s39
	s_cbranch_scc1 .LBB50_23
; %bb.21:                               ;   in Loop: Header=BB50_8 Depth=1
	s_waitcnt lgkmcnt(0)
	v_mov_b32_e32 v10, v1
	s_branch .LBB50_8
.LBB50_22:
	v_mov_b32_e32 v1, 0
.LBB50_23:
	s_mov_b32 s0, exec_lo
	v_cmpx_eq_u32_e32 0, v0
	s_cbranch_execz .LBB50_27
; %bb.24:
	s_waitcnt lgkmcnt(0)
	v_mul_lo_u32 v1, v1, s31
	s_cmp_lg_u32 s34, 0
	s_cbranch_scc1 .LBB50_26
; %bb.25:
	v_dual_mov_b32 v3, 0 :: v_dual_mov_b32 v2, s28
	global_store_b64 v3, v[1:2], s[16:17]
.LBB50_26:
	v_mov_b32_e32 v2, s11
	ds_store_b32 v2, v1
.LBB50_27:
	s_or_b32 exec_lo, exec_lo, s0
	s_cmp_eq_u64 s[26:27], 0
	s_waitcnt lgkmcnt(0)
	s_waitcnt_vscnt null, 0x0
	s_cselect_b32 s0, -1, 0
	s_cmp_lg_u32 s34, 0
	s_barrier
	s_cselect_b32 s1, -1, 0
	buffer_gl0_inv
	s_or_b32 s0, s1, s0
	s_delay_alu instid0(SALU_CYCLE_1)
	s_and_b32 vcc_lo, exec_lo, s0
	s_cbranch_vccnz .LBB50_34
; %bb.28:
	s_mul_i32 s1, s38, s28
	s_mov_b32 s2, exec_lo
	v_cmpx_gt_i32_e64 s1, v0
	s_cbranch_execz .LBB50_33
; %bb.29:
	v_lshlrev_b32_e32 v3, 2, v0
	v_mov_b32_e32 v7, v0
	s_add_i32 s11, s11, 4
	s_mov_b32 s3, 0
	s_delay_alu instid0(VALU_DEP_2) | instskip(NEXT) | instid1(VALU_DEP_1)
	v_add_co_u32 v1, s0, s40, v3
	v_add_co_ci_u32_e64 v2, null, s41, 0, s0
	v_add_co_u32 v3, s0, s26, v3
	s_delay_alu instid0(VALU_DEP_1)
	v_add_co_ci_u32_e64 v4, null, s27, 0, s0
	s_set_inst_prefetch_distance 0x1
	s_branch .LBB50_31
	.p2align	6
.LBB50_30:                              ;   in Loop: Header=BB50_31 Depth=1
	s_or_b32 exec_lo, exec_lo, s0
	v_add_nc_u32_e32 v7, 0x100, v7
	v_add_co_u32 v1, vcc_lo, 0x400, v1
	v_add_co_ci_u32_e32 v2, vcc_lo, 0, v2, vcc_lo
	s_waitcnt lgkmcnt(0)
	global_store_b32 v[3:4], v9, off
	v_cmp_le_i32_e32 vcc_lo, s1, v7
	v_add_co_u32 v3, s0, 0x400, v3
	s_delay_alu instid0(VALU_DEP_1) | instskip(SKIP_1) | instid1(SALU_CYCLE_1)
	v_add_co_ci_u32_e64 v4, s0, 0, v4, s0
	s_or_b32 s3, vcc_lo, s3
	s_and_not1_b32 exec_lo, exec_lo, s3
	s_cbranch_execz .LBB50_33
.LBB50_31:                              ; =>This Inner Loop Header: Depth=1
	global_load_b32 v8, v[1:2], off
	v_mov_b32_e32 v9, -1
	s_waitcnt vmcnt(0)
	v_cmp_lt_i32_e32 vcc_lo, -1, v8
	v_cmp_gt_i32_e64 s0, s29, v8
	s_delay_alu instid0(VALU_DEP_1) | instskip(NEXT) | instid1(SALU_CYCLE_1)
	s_and_b32 s4, vcc_lo, s0
	s_and_saveexec_b32 s0, s4
	s_cbranch_execz .LBB50_30
; %bb.32:                               ;   in Loop: Header=BB50_31 Depth=1
	v_lshl_add_u32 v8, v8, 2, s11
	ds_load_b32 v9, v8
	s_branch .LBB50_30
.LBB50_33:
	s_set_inst_prefetch_distance 0x2
	s_or_b32 exec_lo, exec_lo, s2
.LBB50_34:
	s_lshl_b32 s0, s34, 2
	s_delay_alu instid0(SALU_CYCLE_1) | instskip(NEXT) | instid1(SALU_CYCLE_1)
	s_add_i32 s0, s0, 0
	v_mov_b32_e32 v1, s0
	ds_load_2addr_b32 v[1:2], v1 offset0:20 offset1:21
	s_waitcnt lgkmcnt(0)
	v_cmp_eq_u32_e32 vcc_lo, v1, v2
	s_cbranch_vccnz .LBB50_50
; %bb.35:
	s_ashr_i32 s35, s34, 31
	v_mov_b32_e32 v11, 0
	s_lshl_b64 s[0:1], s[34:35], 2
	s_delay_alu instid0(SALU_CYCLE_1)
	s_add_u32 s0, s24, s0
	s_addc_u32 s1, s25, s1
	global_load_b32 v3, v11, s[0:1]
	s_waitcnt vmcnt(0)
	v_cmp_eq_u32_e32 vcc_lo, 0, v3
	s_cbranch_vccnz .LBB50_50
; %bb.36:
	s_cmp_lt_i32 s30, 1
	s_cbranch_scc1 .LBB50_47
; %bb.37:
	v_mbcnt_lo_u32_b32 v3, -1, 0
	v_lshl_add_u32 v8, v5, 2, 0
	s_mul_i32 s4, s30, s34
	s_add_i32 s6, s30, 0xff
	s_ashr_i32 s5, s4, 31
	v_dual_mov_b32 v5, 0 :: v_dual_lshlrev_b32 v4, 2, v3
	s_lshl_b64 s[14:15], s[4:5], 2
	v_cmp_lt_u32_e64 s4, 15, v3
	v_cmp_eq_u32_e32 vcc_lo, 31, v6
	s_delay_alu instid0(VALU_DEP_3) | instskip(SKIP_3) | instid1(VALU_DEP_4)
	v_dual_mov_b32 v11, 0 :: v_dual_and_b32 v4, 64, v4
	v_cmp_gt_u32_e64 s0, 32, v0
	v_cmp_lt_u32_e64 s1, 63, v0
	v_cmp_lt_u32_e64 s2, 0x5f, v0
	v_dual_mov_b32 v10, 0 :: v_dual_add_nc_u32 v9, -4, v4
	v_mad_u64_u32 v[3:4], null, v0, s38, -1
	v_cmp_lt_u32_e64 s3, 0x7f, v0
	s_lshr_b32 s11, s6, 8
	v_cmp_lt_u32_e64 s5, 0x9f, v0
	v_cmp_lt_u32_e64 s6, 0xbf, v0
	v_cmp_lt_u32_e64 s7, 0xdf, v0
	v_cmp_eq_u32_e64 s8, 0xff, v0
	v_mov_b32_e32 v6, v0
	s_add_u32 s12, s12, s14
	s_addc_u32 s13, s13, s15
	s_lshl_b32 s14, s38, 8
	s_branch .LBB50_39
.LBB50_38:                              ;   in Loop: Header=BB50_39 Depth=1
	s_or_b32 exec_lo, exec_lo, s10
	v_add_nc_u32_e32 v6, 0x100, v6
	v_add_nc_u32_e32 v3, s14, v3
	s_add_i32 s11, s11, -1
	s_delay_alu instid0(SALU_CYCLE_1)
	s_cmp_eq_u32 s11, 0
	s_cbranch_scc1 .LBB50_47
.LBB50_39:                              ; =>This Inner Loop Header: Depth=1
	v_mov_b32_e32 v4, 0
	s_mov_b32 s10, exec_lo
	v_cmpx_gt_i32_e64 s28, v6
	s_cbranch_execz .LBB50_41
; %bb.40:                               ;   in Loop: Header=BB50_39 Depth=1
	v_ashrrev_i32_e32 v7, 31, v6
	s_delay_alu instid0(VALU_DEP_1) | instskip(NEXT) | instid1(VALU_DEP_1)
	v_lshlrev_b64 v[12:13], 2, v[6:7]
	v_add_co_u32 v12, s9, s12, v12
	s_delay_alu instid0(VALU_DEP_1)
	v_add_co_ci_u32_e64 v13, s9, s13, v13, s9
	global_load_b32 v4, v[12:13], off
.LBB50_41:                              ;   in Loop: Header=BB50_39 Depth=1
	s_or_b32 exec_lo, exec_lo, s10
	s_waitcnt vmcnt(0)
	v_add_co_u32 v7, s9, v4, -1
	s_delay_alu instid0(VALU_DEP_1)
	v_cndmask_b32_e64 v12, 0, 1, s9
	s_waitcnt_vscnt null, 0x0
	s_waitcnt lgkmcnt(0)
	s_barrier
	buffer_gl0_inv
	v_mov_b32_dpp v13, v12 row_shr:1 row_mask:0xf bank_mask:0xf bound_ctrl:1
	s_delay_alu instid0(VALU_DEP_1) | instskip(NEXT) | instid1(VALU_DEP_1)
	v_add_co_ci_u32_e64 v14, s10, 0, v13, s9
	v_mov_b32_dpp v14, v14 row_shr:2 row_mask:0xf bank_mask:0xf bound_ctrl:1
	s_delay_alu instid0(VALU_DEP_1) | instskip(NEXT) | instid1(VALU_DEP_1)
	v_add_co_ci_u32_e64 v13, s10, v14, v13, s9
	v_add_nc_u32_dpp v13, v13, v13 row_shr:4 row_mask:0xf bank_mask:0xf bound_ctrl:1
	s_delay_alu instid0(VALU_DEP_1) | instskip(SKIP_3) | instid1(VALU_DEP_1)
	v_add_nc_u32_dpp v13, v13, v13 row_shr:8 row_mask:0xf bank_mask:0xf bound_ctrl:1
	ds_bpermute_b32 v14, v9, v13
	s_waitcnt lgkmcnt(0)
	v_cndmask_b32_e64 v14, 0, v14, s4
	v_add_nc_u32_e32 v13, v13, v14
	s_and_saveexec_b32 s10, vcc_lo
	s_cbranch_execz .LBB50_43
; %bb.42:                               ;   in Loop: Header=BB50_39 Depth=1
	ds_store_b32 v8, v13 offset:16
.LBB50_43:                              ;   in Loop: Header=BB50_39 Depth=1
	s_or_b32 exec_lo, exec_lo, s10
	s_waitcnt lgkmcnt(0)
	s_barrier
	buffer_gl0_inv
	ds_load_2addr_b32 v[14:15], v10 offset0:4 offset1:5
	ds_load_2addr_b32 v[16:17], v10 offset0:6 offset1:7
	;; [unrolled: 1-line block ×3, first 2 shown]
	ds_load_b32 v20, v10 offset:40
	s_waitcnt lgkmcnt(3)
	v_cndmask_b32_e64 v14, v14, 0, s0
	v_cndmask_b32_e64 v15, 0, v15, s1
	s_waitcnt lgkmcnt(2)
	v_cndmask_b32_e64 v16, 0, v16, s2
	s_delay_alu instid0(VALU_DEP_3) | instskip(SKIP_3) | instid1(VALU_DEP_3)
	v_add3_u32 v11, v13, v11, v14
	v_cndmask_b32_e64 v13, 0, v17, s3
	s_waitcnt lgkmcnt(1)
	v_cndmask_b32_e64 v14, 0, v18, s5
	v_add3_u32 v11, v11, v15, v16
	v_cndmask_b32_e64 v15, 0, v19, s6
	s_waitcnt lgkmcnt(0)
	v_cndmask_b32_e64 v16, 0, v20, s7
	s_delay_alu instid0(VALU_DEP_3) | instskip(NEXT) | instid1(VALU_DEP_1)
	v_add3_u32 v11, v11, v13, v14
	v_add3_u32 v13, v11, v15, v16
	s_and_saveexec_b32 s10, s8
	s_cbranch_execz .LBB50_45
; %bb.44:                               ;   in Loop: Header=BB50_39 Depth=1
	ds_store_b32 v10, v13
.LBB50_45:                              ;   in Loop: Header=BB50_39 Depth=1
	s_or_b32 exec_lo, exec_lo, s10
	s_waitcnt lgkmcnt(0)
	s_barrier
	buffer_gl0_inv
	ds_load_b32 v11, v10
	s_and_saveexec_b32 s10, s9
	s_cbranch_execz .LBB50_38
; %bb.46:                               ;   in Loop: Header=BB50_39 Depth=1
	v_add_nc_u32_e32 v4, v4, v3
	v_sub_nc_u32_e32 v12, v1, v12
	v_perm_b32 v7, v7, v6, 0x4020100
	s_delay_alu instid0(VALU_DEP_3) | instskip(NEXT) | instid1(VALU_DEP_3)
	v_lshlrev_b64 v[14:15], 2, v[4:5]
	v_add_nc_u32_e32 v12, v12, v13
	s_delay_alu instid0(VALU_DEP_1) | instskip(NEXT) | instid1(VALU_DEP_3)
	v_ashrrev_i32_e32 v13, 31, v12
	v_add_co_u32 v14, s9, s42, v14
	s_delay_alu instid0(VALU_DEP_1) | instskip(NEXT) | instid1(VALU_DEP_3)
	v_add_co_ci_u32_e64 v15, s9, s43, v15, s9
	v_lshlrev_b64 v[12:13], 2, v[12:13]
	global_load_b32 v4, v[14:15], off
	v_add_co_u32 v14, s9, s20, v12
	s_delay_alu instid0(VALU_DEP_1) | instskip(SKIP_1) | instid1(VALU_DEP_1)
	v_add_co_ci_u32_e64 v15, s9, s21, v13, s9
	v_add_co_u32 v12, s9, s22, v12
	v_add_co_ci_u32_e64 v13, s9, s23, v13, s9
	global_store_b32 v[14:15], v7, off
	s_waitcnt vmcnt(0)
	global_store_b32 v[12:13], v4, off
	s_branch .LBB50_38
.LBB50_47:
	s_waitcnt lgkmcnt(0)
	v_add3_u32 v0, v11, v1, v0
	s_mov_b32 s0, exec_lo
	s_delay_alu instid0(VALU_DEP_1)
	v_cmpx_lt_i32_e64 v0, v2
	s_cbranch_execz .LBB50_50
; %bb.48:
	v_ashrrev_i32_e32 v1, 31, v0
	s_and_b32 s0, s28, 0xffffff
	s_lshl_b32 s1, s38, 24
	v_mov_b32_e32 v7, 0
	s_or_b32 s0, s1, s0
	v_lshlrev_b64 v[5:6], 2, v[0:1]
	v_mov_b32_e32 v1, s0
	s_mov_b32 s1, 0
	s_delay_alu instid0(VALU_DEP_2) | instskip(NEXT) | instid1(VALU_DEP_3)
	v_add_co_u32 v3, vcc_lo, s20, v5
	v_add_co_ci_u32_e32 v4, vcc_lo, s21, v6, vcc_lo
	v_add_co_u32 v5, vcc_lo, s22, v5
	v_add_co_ci_u32_e32 v6, vcc_lo, s23, v6, vcc_lo
	.p2align	6
.LBB50_49:                              ; =>This Inner Loop Header: Depth=1
	v_add_nc_u32_e32 v0, 0x100, v0
	global_store_b32 v[3:4], v1, off
	global_store_b32 v[5:6], v7, off
	v_add_co_u32 v3, vcc_lo, 0x400, v3
	v_add_co_ci_u32_e32 v4, vcc_lo, 0, v4, vcc_lo
	v_cmp_ge_i32_e32 vcc_lo, v0, v2
	v_add_co_u32 v5, s0, 0x400, v5
	s_delay_alu instid0(VALU_DEP_1) | instskip(SKIP_1) | instid1(SALU_CYCLE_1)
	v_add_co_ci_u32_e64 v6, s0, 0, v6, s0
	s_or_b32 s1, vcc_lo, s1
	s_and_not1_b32 exec_lo, exec_lo, s1
	s_cbranch_execnz .LBB50_49
.LBB50_50:
	s_nop 0
	s_sendmsg sendmsg(MSG_DEALLOC_VGPRS)
	s_endpgm
	.section	.rodata,"a",@progbits
	.p2align	6, 0x0
	.amdhsa_kernel _ZN5aiter22opus_moe_sorting_entryINS_30MoeSortingMultiPhaseKernel_P23INS_19MoeSortingProblemMpIifiLi1ELb1ELb0ELb1EEEEENS4_5KargsEEEvT0_
		.amdhsa_group_segment_fixed_size 0
		.amdhsa_private_segment_fixed_size 0
		.amdhsa_kernarg_size 400
		.amdhsa_user_sgpr_count 15
		.amdhsa_user_sgpr_dispatch_ptr 0
		.amdhsa_user_sgpr_queue_ptr 0
		.amdhsa_user_sgpr_kernarg_segment_ptr 1
		.amdhsa_user_sgpr_dispatch_id 0
		.amdhsa_user_sgpr_private_segment_size 0
		.amdhsa_wavefront_size32 1
		.amdhsa_uses_dynamic_stack 0
		.amdhsa_enable_private_segment 0
		.amdhsa_system_sgpr_workgroup_id_x 1
		.amdhsa_system_sgpr_workgroup_id_y 0
		.amdhsa_system_sgpr_workgroup_id_z 0
		.amdhsa_system_sgpr_workgroup_info 0
		.amdhsa_system_vgpr_workitem_id 0
		.amdhsa_next_free_vgpr 35
		.amdhsa_next_free_sgpr 49
		.amdhsa_reserve_vcc 1
		.amdhsa_float_round_mode_32 0
		.amdhsa_float_round_mode_16_64 0
		.amdhsa_float_denorm_mode_32 3
		.amdhsa_float_denorm_mode_16_64 3
		.amdhsa_dx10_clamp 1
		.amdhsa_ieee_mode 1
		.amdhsa_fp16_overflow 0
		.amdhsa_workgroup_processor_mode 1
		.amdhsa_memory_ordered 1
		.amdhsa_forward_progress 0
		.amdhsa_shared_vgpr_count 0
		.amdhsa_exception_fp_ieee_invalid_op 0
		.amdhsa_exception_fp_denorm_src 0
		.amdhsa_exception_fp_ieee_div_zero 0
		.amdhsa_exception_fp_ieee_overflow 0
		.amdhsa_exception_fp_ieee_underflow 0
		.amdhsa_exception_fp_ieee_inexact 0
		.amdhsa_exception_int_div_zero 0
	.end_amdhsa_kernel
	.section	.text._ZN5aiter22opus_moe_sorting_entryINS_30MoeSortingMultiPhaseKernel_P23INS_19MoeSortingProblemMpIifiLi1ELb1ELb0ELb1EEEEENS4_5KargsEEEvT0_,"axG",@progbits,_ZN5aiter22opus_moe_sorting_entryINS_30MoeSortingMultiPhaseKernel_P23INS_19MoeSortingProblemMpIifiLi1ELb1ELb0ELb1EEEEENS4_5KargsEEEvT0_,comdat
.Lfunc_end50:
	.size	_ZN5aiter22opus_moe_sorting_entryINS_30MoeSortingMultiPhaseKernel_P23INS_19MoeSortingProblemMpIifiLi1ELb1ELb0ELb1EEEEENS4_5KargsEEEvT0_, .Lfunc_end50-_ZN5aiter22opus_moe_sorting_entryINS_30MoeSortingMultiPhaseKernel_P23INS_19MoeSortingProblemMpIifiLi1ELb1ELb0ELb1EEEEENS4_5KargsEEEvT0_
                                        ; -- End function
	.section	.AMDGPU.csdata,"",@progbits
; Kernel info:
; codeLenInByte = 2924
; NumSgprs: 51
; NumVgprs: 35
; ScratchSize: 0
; MemoryBound: 0
; FloatMode: 240
; IeeeMode: 1
; LDSByteSize: 0 bytes/workgroup (compile time only)
; SGPRBlocks: 6
; VGPRBlocks: 4
; NumSGPRsForWavesPerEU: 51
; NumVGPRsForWavesPerEU: 35
; Occupancy: 16
; WaveLimiterHint : 0
; COMPUTE_PGM_RSRC2:SCRATCH_EN: 0
; COMPUTE_PGM_RSRC2:USER_SGPR: 15
; COMPUTE_PGM_RSRC2:TRAP_HANDLER: 0
; COMPUTE_PGM_RSRC2:TGID_X_EN: 1
; COMPUTE_PGM_RSRC2:TGID_Y_EN: 0
; COMPUTE_PGM_RSRC2:TGID_Z_EN: 0
; COMPUTE_PGM_RSRC2:TIDIG_COMP_CNT: 0
	.section	.text._ZN5aiter22opus_moe_sorting_entryINS_32MoeSortingMultiPhaseKernel_P0_v2INS_19MoeSortingProblemMpIifiLi1ELb0ELb1ELb1EEEEENS4_5KargsEEEvT0_,"axG",@progbits,_ZN5aiter22opus_moe_sorting_entryINS_32MoeSortingMultiPhaseKernel_P0_v2INS_19MoeSortingProblemMpIifiLi1ELb0ELb1ELb1EEEEENS4_5KargsEEEvT0_,comdat
	.protected	_ZN5aiter22opus_moe_sorting_entryINS_32MoeSortingMultiPhaseKernel_P0_v2INS_19MoeSortingProblemMpIifiLi1ELb0ELb1ELb1EEEEENS4_5KargsEEEvT0_ ; -- Begin function _ZN5aiter22opus_moe_sorting_entryINS_32MoeSortingMultiPhaseKernel_P0_v2INS_19MoeSortingProblemMpIifiLi1ELb0ELb1ELb1EEEEENS4_5KargsEEEvT0_
	.globl	_ZN5aiter22opus_moe_sorting_entryINS_32MoeSortingMultiPhaseKernel_P0_v2INS_19MoeSortingProblemMpIifiLi1ELb0ELb1ELb1EEEEENS4_5KargsEEEvT0_
	.p2align	8
	.type	_ZN5aiter22opus_moe_sorting_entryINS_32MoeSortingMultiPhaseKernel_P0_v2INS_19MoeSortingProblemMpIifiLi1ELb0ELb1ELb1EEEEENS4_5KargsEEEvT0_,@function
_ZN5aiter22opus_moe_sorting_entryINS_32MoeSortingMultiPhaseKernel_P0_v2INS_19MoeSortingProblemMpIifiLi1ELb0ELb1ELb1EEEEENS4_5KargsEEEvT0_: ; @_ZN5aiter22opus_moe_sorting_entryINS_32MoeSortingMultiPhaseKernel_P0_v2INS_19MoeSortingProblemMpIifiLi1ELb0ELb1ELb1EEEEENS4_5KargsEEEvT0_
; %bb.0:
	s_clause 0x1
	s_load_b128 s[8:11], s[0:1], 0x0
	s_load_b64 s[12:13], s[0:1], 0x10
	v_lshlrev_b32_e32 v7, 2, v0
	s_mov_b32 s2, s15
	s_waitcnt lgkmcnt(0)
	s_load_b32 s16, s[10:11], 0x0
	s_clause 0x1
	s_load_b128 s[4:7], s[0:1], 0x20
	s_load_b64 s[10:11], s[0:1], 0x38
	s_waitcnt lgkmcnt(0)
	s_add_i32 s0, s16, 31
	s_delay_alu instid0(SALU_CYCLE_1) | instskip(NEXT) | instid1(SALU_CYCLE_1)
	s_ashr_i32 s1, s0, 31
	s_lshr_b32 s1, s1, 27
	s_delay_alu instid0(SALU_CYCLE_1) | instskip(SKIP_2) | instid1(SALU_CYCLE_1)
	s_add_i32 s3, s0, s1
	s_mov_b32 s1, exec_lo
	s_and_not1_b32 s3, s3, 31
	s_mul_i32 s14, s3, s15
	s_delay_alu instid0(SALU_CYCLE_1)
	s_ashr_i32 s15, s14, 31
	v_cmpx_gt_i32_e64 s3, v0
	s_cbranch_execz .LBB51_3
; %bb.1:
	s_lshl_b64 s[18:19], s[14:15], 2
	v_dual_mov_b32 v3, 0 :: v_dual_mov_b32 v4, v0
	s_add_u32 s0, s12, s18
	s_addc_u32 s7, s13, s19
	v_add_co_u32 v1, s0, s0, v7
	s_delay_alu instid0(VALU_DEP_1)
	v_add_co_ci_u32_e64 v2, null, s7, 0, s0
	s_mov_b32 s7, 0
.LBB51_2:                               ; =>This Inner Loop Header: Depth=1
	v_add_nc_u32_e32 v4, 0x200, v4
	global_store_b32 v[1:2], v3, off
	v_add_co_u32 v1, s0, 0x800, v1
	s_delay_alu instid0(VALU_DEP_1) | instskip(SKIP_2) | instid1(SALU_CYCLE_1)
	v_add_co_ci_u32_e64 v2, s0, 0, v2, s0
	v_cmp_le_i32_e32 vcc_lo, s3, v4
	s_or_b32 s7, vcc_lo, s7
	s_and_not1_b32 exec_lo, exec_lo, s7
	s_cbranch_execnz .LBB51_2
.LBB51_3:
	s_or_b32 exec_lo, exec_lo, s1
	s_mul_i32 s7, s16, s4
	s_mov_b32 s17, exec_lo
	s_waitcnt_vscnt null, 0x0
	s_barrier
	buffer_gl0_inv
	v_cmpx_gt_i32_e64 s7, v0
	s_cbranch_execz .LBB51_8
; %bb.4:
	v_mad_u64_u32 v[1:2], null, v0, s5, 0
	v_add_co_u32 v3, s0, s8, v7
	s_lshl_b64 s[18:19], s[14:15], 2
	v_add_co_ci_u32_e64 v4, null, s9, 0, s0
	v_mov_b32_e32 v6, 0
	v_mov_b32_e32 v8, v0
	s_mov_b32 s1, 0
	s_mov_b32 s0, s5
	s_add_u32 s18, s12, s18
	s_addc_u32 s19, s13, s19
	s_sub_i32 s8, 0, s4
	s_lshl_b64 s[4:5], s[0:1], 9
	s_set_inst_prefetch_distance 0x1
	s_branch .LBB51_6
	.p2align	6
.LBB51_5:                               ;   in Loop: Header=BB51_6 Depth=1
	s_or_b32 exec_lo, exec_lo, s0
	v_add_nc_u32_e32 v8, 0x200, v8
	v_add_co_u32 v1, vcc_lo, v1, s4
	v_add_co_ci_u32_e32 v2, vcc_lo, s5, v2, vcc_lo
	s_delay_alu instid0(VALU_DEP_3) | instskip(SKIP_1) | instid1(VALU_DEP_1)
	v_cmp_le_i32_e32 vcc_lo, s7, v8
	v_add_co_u32 v3, s0, 0x800, v3
	v_add_co_ci_u32_e64 v4, s0, 0, v4, s0
	s_or_b32 s1, vcc_lo, s1
	s_delay_alu instid0(SALU_CYCLE_1)
	s_and_not1_b32 exec_lo, exec_lo, s1
	s_cbranch_execz .LBB51_8
.LBB51_6:                               ; =>This Inner Loop Header: Depth=1
	global_load_b32 v9, v[3:4], off
	v_add_nc_u32_e32 v5, v8, v2
	s_delay_alu instid0(VALU_DEP_1) | instskip(NEXT) | instid1(VALU_DEP_1)
	v_lshrrev_b32_e32 v5, s6, v5
	v_cmp_gt_i32_e64 s0, s16, v5
	s_waitcnt vmcnt(0)
	v_cmp_eq_u32_e32 vcc_lo, s2, v9
	s_delay_alu instid0(VALU_DEP_2) | instskip(NEXT) | instid1(SALU_CYCLE_1)
	s_and_b32 s9, vcc_lo, s0
	s_and_saveexec_b32 s0, s9
	s_cbranch_execz .LBB51_5
; %bb.7:                                ;   in Loop: Header=BB51_6 Depth=1
	v_mul_lo_u32 v9, s8, v5
	s_delay_alu instid0(VALU_DEP_1) | instskip(SKIP_1) | instid1(VALU_DEP_2)
	v_add3_u32 v11, v8, v9, 1
	v_lshlrev_b64 v[9:10], 2, v[5:6]
	v_and_b32_e32 v5, 0xffff, v11
	s_delay_alu instid0(VALU_DEP_2) | instskip(NEXT) | instid1(VALU_DEP_3)
	v_add_co_u32 v9, vcc_lo, s18, v9
	v_add_co_ci_u32_e32 v10, vcc_lo, s19, v10, vcc_lo
	global_store_b32 v[9:10], v5, off
	s_branch .LBB51_5
.LBB51_8:
	s_set_inst_prefetch_distance 0x2
	s_or_b32 exec_lo, exec_lo, s17
	s_cmp_lt_i32 s16, 1
	s_waitcnt_vscnt null, 0x0
	s_barrier
	buffer_gl0_inv
	s_cbranch_scc1 .LBB51_13
; %bb.9:
	v_mbcnt_lo_u32_b32 v1, -1, 0
	s_add_i32 s0, s3, 0x1ff
	s_lshl_b64 s[4:5], s[14:15], 2
	s_lshr_b32 s0, s0, 9
	v_mov_b32_e32 v3, 0
	v_lshlrev_b32_e32 v1, 2, v1
	s_max_u32 s1, s0, 1
	s_add_u32 s0, s12, s4
	s_addc_u32 s4, s13, s5
	s_delay_alu instid0(VALU_DEP_1)
	v_xor_b32_e32 v4, 4, v1
	v_xor_b32_e32 v5, 8, v1
	;; [unrolled: 1-line block ×5, first 2 shown]
	v_add_co_u32 v1, s0, s0, v7
	s_delay_alu instid0(VALU_DEP_1)
	v_add_co_ci_u32_e64 v2, null, s4, 0, s0
	v_mov_b32_e32 v7, v0
	s_set_inst_prefetch_distance 0x1
	s_branch .LBB51_11
	.p2align	6
.LBB51_10:                              ;   in Loop: Header=BB51_11 Depth=1
	s_or_b32 exec_lo, exec_lo, s0
	s_waitcnt vmcnt(0)
	v_cmp_ne_u32_e32 vcc_lo, 0, v10
	v_add_nc_u32_e32 v7, 0x200, v7
	s_add_i32 s1, s1, -1
	s_delay_alu instid0(SALU_CYCLE_1)
	s_cmp_eq_u32 s1, 0
	v_cndmask_b32_e64 v10, 0, 1, vcc_lo
	ds_bpermute_b32 v10, v4, v10
	s_waitcnt lgkmcnt(0)
	v_add_co_ci_u32_e64 v11, s0, 0, v10, vcc_lo
	ds_bpermute_b32 v11, v5, v11
	s_waitcnt lgkmcnt(0)
	v_add_co_ci_u32_e32 v10, vcc_lo, v11, v10, vcc_lo
	v_add_co_u32 v1, vcc_lo, 0x800, v1
	v_add_co_ci_u32_e32 v2, vcc_lo, 0, v2, vcc_lo
	ds_bpermute_b32 v11, v6, v10
	s_waitcnt lgkmcnt(0)
	v_add_nc_u32_e32 v10, v10, v11
	ds_bpermute_b32 v11, v8, v10
	s_waitcnt lgkmcnt(0)
	v_add_nc_u32_e32 v10, v10, v11
	ds_bpermute_b32 v11, v9, v10
	s_waitcnt lgkmcnt(0)
	v_add3_u32 v3, v11, v3, v10
	s_cbranch_scc1 .LBB51_14
.LBB51_11:                              ; =>This Inner Loop Header: Depth=1
	v_mov_b32_e32 v10, 0
	s_mov_b32 s0, exec_lo
	v_cmpx_gt_i32_e64 s3, v7
	s_cbranch_execz .LBB51_10
; %bb.12:                               ;   in Loop: Header=BB51_11 Depth=1
	global_load_b32 v10, v[1:2], off
	s_branch .LBB51_10
.LBB51_13:
	v_mov_b32_e32 v3, 0
.LBB51_14:
	s_set_inst_prefetch_distance 0x2
	v_and_b32_e32 v1, 31, v0
	s_mov_b32 s0, exec_lo
	s_delay_alu instid0(VALU_DEP_1)
	v_cmpx_eq_u32_e32 0, v1
	s_cbranch_execz .LBB51_16
; %bb.15:
	v_lshrrev_b32_e32 v1, 3, v0
	s_delay_alu instid0(VALU_DEP_1)
	v_and_b32_e32 v1, 0x7c, v1
	ds_store_b32 v1, v3
.LBB51_16:
	s_or_b32 exec_lo, exec_lo, s0
	s_waitcnt lgkmcnt(0)
	s_barrier
	buffer_gl0_inv
	s_mov_b32 s0, exec_lo
	v_cmpx_eq_u32_e32 0, v0
	s_cbranch_execz .LBB51_18
; %bb.17:
	v_mov_b32_e32 v8, 0
	s_ashr_i32 s3, s2, 31
	ds_load_b128 v[0:3], v8
	ds_load_b128 v[4:7], v8 offset:16
	s_lshl_b64 s[0:1], s[2:3], 2
	s_delay_alu instid0(SALU_CYCLE_1) | instskip(SKIP_3) | instid1(VALU_DEP_1)
	s_add_u32 s0, s10, s0
	s_addc_u32 s1, s11, s1
	s_waitcnt lgkmcnt(1)
	v_add_nc_u32_e32 v0, v1, v0
	v_add_nc_u32_e32 v0, v0, v2
	s_delay_alu instid0(VALU_DEP_1) | instskip(SKIP_1) | instid1(VALU_DEP_1)
	v_add_nc_u32_e32 v0, v0, v3
	s_waitcnt lgkmcnt(0)
	v_add_nc_u32_e32 v4, v0, v4
	s_delay_alu instid0(VALU_DEP_1) | instskip(NEXT) | instid1(VALU_DEP_1)
	v_add_nc_u32_e32 v4, v4, v5
	v_add_nc_u32_e32 v4, v4, v6
	s_delay_alu instid0(VALU_DEP_1) | instskip(SKIP_4) | instid1(VALU_DEP_1)
	v_add_nc_u32_e32 v9, v4, v7
	ds_load_b128 v[0:3], v8 offset:32
	ds_load_b128 v[4:7], v8 offset:48
	s_waitcnt lgkmcnt(1)
	v_add_nc_u32_e32 v0, v9, v0
	v_add_nc_u32_e32 v0, v0, v1
	s_delay_alu instid0(VALU_DEP_1) | instskip(NEXT) | instid1(VALU_DEP_1)
	v_add_nc_u32_e32 v0, v0, v2
	v_add_nc_u32_e32 v0, v0, v3
	s_waitcnt lgkmcnt(0)
	s_delay_alu instid0(VALU_DEP_1) | instskip(NEXT) | instid1(VALU_DEP_1)
	v_add_nc_u32_e32 v0, v0, v4
	v_add_nc_u32_e32 v0, v0, v5
	s_delay_alu instid0(VALU_DEP_1) | instskip(NEXT) | instid1(VALU_DEP_1)
	v_add_nc_u32_e32 v0, v0, v6
	v_add_nc_u32_e32 v0, v0, v7
	global_store_b32 v8, v0, s[0:1]
.LBB51_18:
	s_nop 0
	s_sendmsg sendmsg(MSG_DEALLOC_VGPRS)
	s_endpgm
	.section	.rodata,"a",@progbits
	.p2align	6, 0x0
	.amdhsa_kernel _ZN5aiter22opus_moe_sorting_entryINS_32MoeSortingMultiPhaseKernel_P0_v2INS_19MoeSortingProblemMpIifiLi1ELb0ELb1ELb1EEEEENS4_5KargsEEEvT0_
		.amdhsa_group_segment_fixed_size 64
		.amdhsa_private_segment_fixed_size 0
		.amdhsa_kernarg_size 72
		.amdhsa_user_sgpr_count 15
		.amdhsa_user_sgpr_dispatch_ptr 0
		.amdhsa_user_sgpr_queue_ptr 0
		.amdhsa_user_sgpr_kernarg_segment_ptr 1
		.amdhsa_user_sgpr_dispatch_id 0
		.amdhsa_user_sgpr_private_segment_size 0
		.amdhsa_wavefront_size32 1
		.amdhsa_uses_dynamic_stack 0
		.amdhsa_enable_private_segment 0
		.amdhsa_system_sgpr_workgroup_id_x 1
		.amdhsa_system_sgpr_workgroup_id_y 0
		.amdhsa_system_sgpr_workgroup_id_z 0
		.amdhsa_system_sgpr_workgroup_info 0
		.amdhsa_system_vgpr_workitem_id 0
		.amdhsa_next_free_vgpr 12
		.amdhsa_next_free_sgpr 20
		.amdhsa_reserve_vcc 1
		.amdhsa_float_round_mode_32 0
		.amdhsa_float_round_mode_16_64 0
		.amdhsa_float_denorm_mode_32 3
		.amdhsa_float_denorm_mode_16_64 3
		.amdhsa_dx10_clamp 1
		.amdhsa_ieee_mode 1
		.amdhsa_fp16_overflow 0
		.amdhsa_workgroup_processor_mode 1
		.amdhsa_memory_ordered 1
		.amdhsa_forward_progress 0
		.amdhsa_shared_vgpr_count 0
		.amdhsa_exception_fp_ieee_invalid_op 0
		.amdhsa_exception_fp_denorm_src 0
		.amdhsa_exception_fp_ieee_div_zero 0
		.amdhsa_exception_fp_ieee_overflow 0
		.amdhsa_exception_fp_ieee_underflow 0
		.amdhsa_exception_fp_ieee_inexact 0
		.amdhsa_exception_int_div_zero 0
	.end_amdhsa_kernel
	.section	.text._ZN5aiter22opus_moe_sorting_entryINS_32MoeSortingMultiPhaseKernel_P0_v2INS_19MoeSortingProblemMpIifiLi1ELb0ELb1ELb1EEEEENS4_5KargsEEEvT0_,"axG",@progbits,_ZN5aiter22opus_moe_sorting_entryINS_32MoeSortingMultiPhaseKernel_P0_v2INS_19MoeSortingProblemMpIifiLi1ELb0ELb1ELb1EEEEENS4_5KargsEEEvT0_,comdat
.Lfunc_end51:
	.size	_ZN5aiter22opus_moe_sorting_entryINS_32MoeSortingMultiPhaseKernel_P0_v2INS_19MoeSortingProblemMpIifiLi1ELb0ELb1ELb1EEEEENS4_5KargsEEEvT0_, .Lfunc_end51-_ZN5aiter22opus_moe_sorting_entryINS_32MoeSortingMultiPhaseKernel_P0_v2INS_19MoeSortingProblemMpIifiLi1ELb0ELb1ELb1EEEEENS4_5KargsEEEvT0_
                                        ; -- End function
	.section	.AMDGPU.csdata,"",@progbits
; Kernel info:
; codeLenInByte = 1084
; NumSgprs: 22
; NumVgprs: 12
; ScratchSize: 0
; MemoryBound: 0
; FloatMode: 240
; IeeeMode: 1
; LDSByteSize: 64 bytes/workgroup (compile time only)
; SGPRBlocks: 2
; VGPRBlocks: 1
; NumSGPRsForWavesPerEU: 22
; NumVGPRsForWavesPerEU: 12
; Occupancy: 16
; WaveLimiterHint : 1
; COMPUTE_PGM_RSRC2:SCRATCH_EN: 0
; COMPUTE_PGM_RSRC2:USER_SGPR: 15
; COMPUTE_PGM_RSRC2:TRAP_HANDLER: 0
; COMPUTE_PGM_RSRC2:TGID_X_EN: 1
; COMPUTE_PGM_RSRC2:TGID_Y_EN: 0
; COMPUTE_PGM_RSRC2:TGID_Z_EN: 0
; COMPUTE_PGM_RSRC2:TIDIG_COMP_CNT: 0
	.section	.text._ZN5aiter22opus_moe_sorting_entryINS_30MoeSortingMultiPhaseKernel_P23INS_19MoeSortingProblemMpIifiLi1ELb0ELb1ELb1EEEEENS4_5KargsEEEvT0_,"axG",@progbits,_ZN5aiter22opus_moe_sorting_entryINS_30MoeSortingMultiPhaseKernel_P23INS_19MoeSortingProblemMpIifiLi1ELb0ELb1ELb1EEEEENS4_5KargsEEEvT0_,comdat
	.protected	_ZN5aiter22opus_moe_sorting_entryINS_30MoeSortingMultiPhaseKernel_P23INS_19MoeSortingProblemMpIifiLi1ELb0ELb1ELb1EEEEENS4_5KargsEEEvT0_ ; -- Begin function _ZN5aiter22opus_moe_sorting_entryINS_30MoeSortingMultiPhaseKernel_P23INS_19MoeSortingProblemMpIifiLi1ELb0ELb1ELb1EEEEENS4_5KargsEEEvT0_
	.globl	_ZN5aiter22opus_moe_sorting_entryINS_30MoeSortingMultiPhaseKernel_P23INS_19MoeSortingProblemMpIifiLi1ELb0ELb1ELb1EEEEENS4_5KargsEEEvT0_
	.p2align	8
	.type	_ZN5aiter22opus_moe_sorting_entryINS_30MoeSortingMultiPhaseKernel_P23INS_19MoeSortingProblemMpIifiLi1ELb0ELb1ELb1EEEEENS4_5KargsEEEvT0_,@function
_ZN5aiter22opus_moe_sorting_entryINS_30MoeSortingMultiPhaseKernel_P23INS_19MoeSortingProblemMpIifiLi1ELb0ELb1ELb1EEEEENS4_5KargsEEEvT0_: ; @_ZN5aiter22opus_moe_sorting_entryINS_30MoeSortingMultiPhaseKernel_P23INS_19MoeSortingProblemMpIifiLi1ELb0ELb1ELb1EEEEENS4_5KargsEEEvT0_
; %bb.0:
	s_clause 0x1
	s_load_b512 s[16:31], s[0:1], 0x18
	s_load_b32 s14, s[0:1], 0x64
	s_mov_b32 s3, -1
	s_waitcnt lgkmcnt(0)
	s_load_b32 s13, s[16:17], 0x0
	s_cmp_lt_i32 s15, s14
	s_cbranch_scc1 .LBB52_5
; %bb.1:
	s_load_b64 s[2:3], s[0:1], 0x84
	v_mov_b32_e32 v2, 0
	s_mov_b32 s10, exec_lo
	s_waitcnt lgkmcnt(0)
	s_ashr_i32 s4, s2, 31
	s_mul_i32 s5, s3, s13
	s_mul_hi_i32 s3, s3, s13
	s_mul_i32 s4, s5, s4
	s_mul_hi_u32 s6, s5, s2
	s_mul_i32 s3, s3, s2
	s_add_i32 s4, s6, s4
	s_mul_i32 s5, s5, s2
	s_add_i32 s4, s4, s3
	s_sub_i32 s3, s15, s14
	s_ashr_i32 s6, s4, 31
	v_lshl_add_u32 v1, s3, 8, v0
	s_lshr_b32 s2, s6, 28
	s_delay_alu instid0(SALU_CYCLE_1) | instskip(SKIP_1) | instid1(SALU_CYCLE_1)
	s_add_u32 s2, s5, s2
	s_addc_u32 s3, s4, 0
	s_ashr_i64 s[4:5], s[2:3], 4
	s_mov_b32 s3, 0
	v_cmpx_gt_i64_e64 s[4:5], v[1:2]
	s_cbranch_execz .LBB52_4
; %bb.2:
	s_load_b32 s2, s[0:1], 0x90
	v_lshlrev_b64 v[7:8], 4, v[1:2]
	v_dual_mov_b32 v6, v2 :: v_dual_mov_b32 v5, v1
	v_mov_b32_e32 v1, v2
	v_mov_b32_e32 v3, v2
	;; [unrolled: 1-line block ×3, first 2 shown]
	v_add_co_u32 v7, vcc_lo, s30, v7
	v_add_co_ci_u32_e32 v8, vcc_lo, s31, v8, vcc_lo
	s_mov_b32 s11, 0
	s_waitcnt lgkmcnt(0)
	s_sub_i32 s2, s2, s14
	s_delay_alu instid0(SALU_CYCLE_1) | instskip(NEXT) | instid1(SALU_CYCLE_1)
	s_lshl_b32 s6, s2, 8
	s_ashr_i32 s7, s6, 31
	s_delay_alu instid0(SALU_CYCLE_1)
	s_lshl_b64 s[8:9], s[6:7], 4
.LBB52_3:                               ; =>This Inner Loop Header: Depth=1
	v_add_co_u32 v5, vcc_lo, v5, s6
	v_add_co_ci_u32_e32 v6, vcc_lo, s7, v6, vcc_lo
	global_store_b128 v[7:8], v[1:4], off
	v_add_co_u32 v7, s2, v7, s8
	v_cmp_le_i64_e32 vcc_lo, s[4:5], v[5:6]
	v_add_co_ci_u32_e64 v8, s2, s9, v8, s2
	s_or_b32 s11, vcc_lo, s11
	s_delay_alu instid0(SALU_CYCLE_1)
	s_and_not1_b32 exec_lo, exec_lo, s11
	s_cbranch_execnz .LBB52_3
.LBB52_4:
	s_or_b32 exec_lo, exec_lo, s10
.LBB52_5:
	s_delay_alu instid0(SALU_CYCLE_1)
	s_and_not1_b32 vcc_lo, exec_lo, s3
	s_cbranch_vccnz .LBB52_48
; %bb.6:
	s_clause 0x1
	s_load_b64 s[16:17], s[0:1], 0x58
	s_load_b128 s[36:39], s[0:1], 0x6c
	s_lshl_b32 s2, s14, 2
	v_lshrrev_b32_e32 v6, 5, v0
	s_add_i32 s30, s2, 0
	v_and_b32_e32 v7, 31, v0
	s_addk_i32 s30, 0x50
	s_cmp_lt_i32 s14, 1
	s_mov_b32 s31, 0
	s_cbranch_scc1 .LBB52_22
; %bb.7:
	v_mbcnt_lo_u32_b32 v1, -1, 0
	s_add_i32 s9, s14, 0xff
	s_waitcnt lgkmcnt(0)
	s_add_i32 s33, s36, -1
	s_lshr_b32 s34, s9, 8
	s_cmp_lg_u64 s[16:17], 0
	v_dual_mov_b32 v11, 0 :: v_dual_lshlrev_b32 v2, 2, v1
	v_cmp_eq_u32_e64 s2, 31, v7
	v_lshl_add_u32 v8, v6, 2, 0
	v_cmp_gt_u32_e64 s3, 32, v0
	s_delay_alu instid0(VALU_DEP_4)
	v_dual_mov_b32 v5, 0 :: v_dual_and_b32 v2, 64, v2
	v_cmp_lt_u32_e64 s4, 63, v0
	v_cmp_lt_u32_e64 s5, 0x5f, v0
	;; [unrolled: 1-line block ×6, first 2 shown]
	v_dual_mov_b32 v10, 0 :: v_dual_add_nc_u32 v9, -4, v2
	v_cmp_lt_u32_e64 s10, 0xdf, v0
	v_cmp_eq_u32_e64 s11, 0xff, v0
	v_mov_b32_e32 v2, 0
	s_cselect_b32 s35, -1, 0
	s_cmp_eq_u32 s15, 0
	s_cselect_b32 s40, -1, 0
	s_add_i32 s41, s30, 4
.LBB52_8:                               ; =>This Loop Header: Depth=1
                                        ;     Child Loop BB52_19 Depth 2
	v_lshl_add_u32 v3, s31, 8, v0
	v_mov_b32_e32 v1, 0
	s_delay_alu instid0(VALU_DEP_2)
	v_cmp_gt_i32_e32 vcc_lo, s14, v3
	s_and_saveexec_b32 s42, vcc_lo
	s_cbranch_execz .LBB52_10
; %bb.9:                                ;   in Loop: Header=BB52_8 Depth=1
	v_ashrrev_i32_e32 v4, 31, v3
	s_delay_alu instid0(VALU_DEP_1) | instskip(NEXT) | instid1(VALU_DEP_1)
	v_lshlrev_b64 v[12:13], 2, v[3:4]
	v_add_co_u32 v12, s12, s20, v12
	s_delay_alu instid0(VALU_DEP_1)
	v_add_co_ci_u32_e64 v13, s12, s21, v13, s12
	global_load_b32 v1, v[12:13], off
.LBB52_10:                              ;   in Loop: Header=BB52_8 Depth=1
	s_or_b32 exec_lo, exec_lo, s42
	s_waitcnt vmcnt(0)
	v_add_nc_u32_e32 v1, s33, v1
	v_mov_b32_dpp v15, v11 row_shr:1 row_mask:0xf bank_mask:0xf bound_ctrl:1
	s_waitcnt_vscnt null, 0x0
	s_barrier
	buffer_gl0_inv
	v_mul_hi_u32 v4, v1, s37
	v_add_nc_u32_dpp v16, v15, v15 row_shr:2 row_mask:0xf bank_mask:0xf bound_ctrl:1
	s_delay_alu instid0(VALU_DEP_1) | instskip(NEXT) | instid1(VALU_DEP_3)
	v_add_nc_u32_dpp v16, v16, v16 row_shr:4 row_mask:0xf bank_mask:0xf bound_ctrl:1
	v_add_nc_u32_e32 v1, v1, v4
	s_delay_alu instid0(VALU_DEP_2) | instskip(NEXT) | instid1(VALU_DEP_2)
	v_add_nc_u32_dpp v17, v16, v16 row_shr:8 row_mask:0xf bank_mask:0xf bound_ctrl:1
	v_lshrrev_b32_e32 v12, s38, v1
	ds_bpermute_b32 v18, v9, v17
	v_mov_b32_dpp v4, v12 row_shr:1 row_mask:0xf bank_mask:0xf bound_ctrl:1
	s_delay_alu instid0(VALU_DEP_1) | instskip(NEXT) | instid1(VALU_DEP_1)
	v_add_nc_u32_e32 v1, v12, v4
	v_mov_b32_dpp v13, v1 row_shr:2 row_mask:0xf bank_mask:0xf bound_ctrl:1
	s_delay_alu instid0(VALU_DEP_1) | instskip(SKIP_2) | instid1(VALU_DEP_2)
	v_add_nc_u32_e32 v1, v1, v13
	s_waitcnt lgkmcnt(0)
	v_cndmask_b32_e64 v18, 0, v18, s9
	v_mov_b32_dpp v14, v1 row_shr:4 row_mask:0xf bank_mask:0xf bound_ctrl:1
	s_delay_alu instid0(VALU_DEP_1) | instskip(NEXT) | instid1(VALU_DEP_1)
	v_add_nc_u32_e32 v1, v1, v14
	v_mov_b32_dpp v15, v1 row_shr:8 row_mask:0xf bank_mask:0xf bound_ctrl:1
	s_delay_alu instid0(VALU_DEP_1) | instskip(SKIP_3) | instid1(VALU_DEP_1)
	v_add_nc_u32_e32 v1, v1, v15
	ds_bpermute_b32 v16, v9, v1
	s_waitcnt lgkmcnt(0)
	v_cndmask_b32_e64 v16, 0, v16, s9
	v_add_nc_u32_e32 v20, v1, v16
	v_add_nc_u32_e32 v1, v18, v17
	s_and_saveexec_b32 s12, s2
	s_cbranch_execz .LBB52_12
; %bb.11:                               ;   in Loop: Header=BB52_8 Depth=1
	ds_store_2addr_b32 v8, v20, v1 offset0:4 offset1:12
.LBB52_12:                              ;   in Loop: Header=BB52_8 Depth=1
	s_or_b32 exec_lo, exec_lo, s12
	s_waitcnt lgkmcnt(0)
	s_barrier
	buffer_gl0_inv
	ds_load_2addr_b32 v[17:18], v10 offset0:4 offset1:5
	ds_load_2addr_b32 v[21:22], v10 offset0:6 offset1:7
	;; [unrolled: 1-line block ×3, first 2 shown]
	ds_load_b32 v25, v10 offset:40
	s_waitcnt lgkmcnt(3)
	v_cndmask_b32_e64 v17, v17, 0, s3
	v_cndmask_b32_e64 v18, 0, v18, s4
	s_waitcnt lgkmcnt(2)
	v_cndmask_b32_e64 v19, 0, v21, s5
	s_waitcnt lgkmcnt(1)
	;; [unrolled: 2-line block ×3, first 2 shown]
	v_cndmask_b32_e64 v23, 0, v25, s10
	v_add3_u32 v26, v20, v5, v17
	v_cndmask_b32_e64 v20, 0, v22, s6
	v_cndmask_b32_e64 v22, 0, v24, s8
	s_delay_alu instid0(VALU_DEP_3) | instskip(NEXT) | instid1(VALU_DEP_1)
	v_add3_u32 v26, v26, v18, v19
	v_add3_u32 v24, v26, v20, v21
	s_delay_alu instid0(VALU_DEP_1)
	v_add3_u32 v24, v24, v22, v23
	s_and_saveexec_b32 s12, s11
	s_cbranch_execz .LBB52_14
; %bb.13:                               ;   in Loop: Header=BB52_8 Depth=1
	ds_load_2addr_b32 v[25:26], v10 offset0:16 offset1:17
	ds_load_b32 v31, v10 offset:72
	ds_load_2addr_b32 v[27:28], v10 offset0:14 offset1:15
	ds_load_2addr_b32 v[29:30], v10 offset0:12 offset1:13
	s_waitcnt lgkmcnt(2)
	v_add_nc_u32_e32 v26, v31, v26
	s_delay_alu instid0(VALU_DEP_1) | instskip(SKIP_1) | instid1(VALU_DEP_1)
	v_add_nc_u32_e32 v25, v26, v25
	s_waitcnt lgkmcnt(1)
	v_add_nc_u32_e32 v25, v25, v28
	s_delay_alu instid0(VALU_DEP_1) | instskip(SKIP_1) | instid1(VALU_DEP_1)
	v_add_nc_u32_e32 v25, v25, v27
	s_waitcnt lgkmcnt(0)
	v_add_nc_u32_e32 v25, v25, v30
	s_delay_alu instid0(VALU_DEP_1) | instskip(NEXT) | instid1(VALU_DEP_1)
	v_add_nc_u32_e32 v25, v25, v29
	v_add3_u32 v1, v25, v2, v1
	ds_store_2addr_b32 v10, v24, v1 offset0:2 offset1:3
.LBB52_14:                              ;   in Loop: Header=BB52_8 Depth=1
	s_or_b32 exec_lo, exec_lo, s12
	s_waitcnt lgkmcnt(0)
	s_barrier
	buffer_gl0_inv
	ds_load_2addr_b32 v[1:2], v10 offset0:2 offset1:3
	s_and_saveexec_b32 s12, vcc_lo
	s_cbranch_execz .LBB52_17
; %bb.15:                               ;   in Loop: Header=BB52_8 Depth=1
	v_sub_nc_u32_e32 v24, v24, v12
	v_lshl_add_u32 v25, v3, 2, 0
	s_and_not1_b32 vcc_lo, exec_lo, s35
	s_delay_alu instid0(VALU_DEP_2)
	v_mul_lo_u32 v24, v24, s36
	ds_store_b32 v25, v24 offset:80
	s_cbranch_vccnz .LBB52_17
; %bb.16:                               ;   in Loop: Header=BB52_8 Depth=1
	v_lshl_add_u32 v24, v3, 2, s41
	ds_store_b32 v24, v3
.LBB52_17:                              ;   in Loop: Header=BB52_8 Depth=1
	s_or_b32 exec_lo, exec_lo, s12
	v_cmp_lt_i32_e32 vcc_lo, 0, v12
	s_and_b32 s12, s40, vcc_lo
	s_delay_alu instid0(SALU_CYCLE_1)
	s_and_saveexec_b32 s42, s12
	s_cbranch_execz .LBB52_20
; %bb.18:                               ;   in Loop: Header=BB52_8 Depth=1
	v_add3_u32 v16, v16, v18, v19
	s_mov_b32 s43, 0
	s_delay_alu instid0(VALU_DEP_1) | instskip(NEXT) | instid1(VALU_DEP_1)
	v_add3_u32 v16, v16, v20, v21
	v_add3_u32 v16, v16, v22, v23
	s_delay_alu instid0(VALU_DEP_1) | instskip(NEXT) | instid1(VALU_DEP_1)
	v_add3_u32 v4, v16, v17, v4
	v_add3_u32 v4, v4, v13, v14
	s_delay_alu instid0(VALU_DEP_1)
	v_add3_u32 v4, v4, v15, v5
.LBB52_19:                              ;   Parent Loop BB52_8 Depth=1
                                        ; =>  This Inner Loop Header: Depth=2
	s_delay_alu instid0(VALU_DEP_1) | instskip(SKIP_1) | instid1(VALU_DEP_2)
	v_ashrrev_i32_e32 v5, 31, v4
	v_add_nc_u32_e32 v12, -1, v12
	v_lshlrev_b64 v[13:14], 2, v[4:5]
	s_delay_alu instid0(VALU_DEP_2) | instskip(SKIP_2) | instid1(VALU_DEP_3)
	v_cmp_eq_u32_e32 vcc_lo, 0, v12
	v_add_nc_u32_e32 v4, 1, v4
	s_or_b32 s43, vcc_lo, s43
	v_add_co_u32 v13, s12, s24, v13
	s_delay_alu instid0(VALU_DEP_1)
	v_add_co_ci_u32_e64 v14, s12, s25, v14, s12
	global_store_b32 v[13:14], v3, off
	s_and_not1_b32 exec_lo, exec_lo, s43
	s_cbranch_execnz .LBB52_19
.LBB52_20:                              ;   in Loop: Header=BB52_8 Depth=1
	s_or_b32 exec_lo, exec_lo, s42
	s_add_i32 s31, s31, 1
	s_delay_alu instid0(SALU_CYCLE_1)
	s_cmp_eq_u32 s31, s34
	s_cbranch_scc1 .LBB52_23
; %bb.21:                               ;   in Loop: Header=BB52_8 Depth=1
	s_waitcnt lgkmcnt(0)
	v_mov_b32_e32 v5, v1
	s_branch .LBB52_8
.LBB52_22:
	v_mov_b32_e32 v1, 0
.LBB52_23:
	s_load_b128 s[40:43], s[0:1], 0x0
	s_mov_b32 s0, exec_lo
	v_cmpx_eq_u32_e32 0, v0
	s_cbranch_execz .LBB52_27
; %bb.24:
	s_waitcnt lgkmcnt(0)
	v_mul_lo_u32 v1, v1, s36
	s_cmp_lg_u32 s15, 0
	s_cbranch_scc1 .LBB52_26
; %bb.25:
	v_dual_mov_b32 v3, 0 :: v_dual_mov_b32 v2, s13
	global_store_b64 v3, v[1:2], s[22:23]
.LBB52_26:
	v_mov_b32_e32 v2, s30
	ds_store_b32 v2, v1
.LBB52_27:
	s_or_b32 exec_lo, exec_lo, s0
	s_waitcnt lgkmcnt(0)
	s_cmp_eq_u64 s[16:17], 0
	s_waitcnt_vscnt null, 0x0
	s_cselect_b32 s0, -1, 0
	s_cmp_lg_u32 s15, 0
	s_barrier
	s_cselect_b32 s1, -1, 0
	buffer_gl0_inv
	s_or_b32 s0, s1, s0
	s_delay_alu instid0(SALU_CYCLE_1)
	s_and_b32 vcc_lo, exec_lo, s0
	s_cbranch_vccnz .LBB52_32
; %bb.28:
	s_mul_i32 s1, s13, s39
	s_mov_b32 s2, exec_lo
	v_cmpx_gt_i32_e64 s1, v0
	s_cbranch_execz .LBB52_31
; %bb.29:
	v_lshlrev_b32_e32 v3, 2, v0
	v_mov_b32_e32 v5, v0
	s_mov_b32 s3, 0
	s_delay_alu instid0(VALU_DEP_2) | instskip(NEXT) | instid1(VALU_DEP_1)
	v_add_co_u32 v1, s0, s40, v3
	v_add_co_ci_u32_e64 v2, null, s41, 0, s0
	v_add_co_u32 v3, s0, s16, v3
	s_delay_alu instid0(VALU_DEP_1)
	v_add_co_ci_u32_e64 v4, null, s17, 0, s0
	.p2align	6
.LBB52_30:                              ; =>This Inner Loop Header: Depth=1
	global_load_b32 v8, v[1:2], off
	v_add_nc_u32_e32 v5, 0x100, v5
	v_add_co_u32 v1, vcc_lo, 0x400, v1
	v_add_co_ci_u32_e32 v2, vcc_lo, 0, v2, vcc_lo
	s_delay_alu instid0(VALU_DEP_3) | instskip(SKIP_4) | instid1(VALU_DEP_1)
	v_cmp_le_i32_e32 vcc_lo, s1, v5
	s_or_b32 s3, vcc_lo, s3
	s_waitcnt vmcnt(0)
	v_max_i32_e32 v9, -1, v8
	v_cmp_gt_i32_e64 s0, s14, v8
	v_cndmask_b32_e64 v8, -1, v9, s0
	global_store_b32 v[3:4], v8, off
	v_add_co_u32 v3, s0, 0x400, v3
	s_delay_alu instid0(VALU_DEP_1)
	v_add_co_ci_u32_e64 v4, s0, 0, v4, s0
	s_and_not1_b32 exec_lo, exec_lo, s3
	s_cbranch_execnz .LBB52_30
.LBB52_31:
	s_or_b32 exec_lo, exec_lo, s2
.LBB52_32:
	s_lshl_b32 s0, s15, 2
	s_delay_alu instid0(SALU_CYCLE_1) | instskip(NEXT) | instid1(SALU_CYCLE_1)
	s_add_i32 s0, s0, 0
	v_mov_b32_e32 v1, s0
	ds_load_2addr_b32 v[1:2], v1 offset0:20 offset1:21
	s_waitcnt lgkmcnt(0)
	v_cmp_eq_u32_e32 vcc_lo, v1, v2
	s_cbranch_vccnz .LBB52_48
; %bb.33:
	s_cmp_lt_i32 s13, 1
	s_cbranch_scc1 .LBB52_44
; %bb.34:
	v_mbcnt_lo_u32_b32 v3, -1, 0
	s_add_i32 s1, s13, 31
	v_cmp_eq_u32_e32 vcc_lo, 31, v7
	s_and_b32 s2, s1, 0x7fffffe0
	v_lshl_add_u32 v8, v6, 2, 0
	v_dual_mov_b32 v5, 0 :: v_dual_lshlrev_b32 v4, 2, v3
	s_mul_i32 s4, s2, s15
	s_add_i32 s3, s2, 0xff
	v_cmp_lt_u32_e64 s2, 15, v3
	s_delay_alu instid0(VALU_DEP_2) | instskip(SKIP_3) | instid1(VALU_DEP_3)
	v_dual_mov_b32 v11, 0 :: v_dual_and_b32 v4, 64, v4
	s_ashr_i32 s5, s4, 31
	v_cmp_gt_u32_e64 s0, 32, v0
	v_cmp_lt_u32_e64 s1, 63, v0
	v_dual_mov_b32 v10, 0 :: v_dual_add_nc_u32 v9, -4, v4
	v_mad_u64_u32 v[3:4], null, v0, s39, -1
	s_lshr_b32 s11, s3, 8
	s_lshl_b64 s[14:15], s[4:5], 2
	v_cmp_lt_u32_e64 s3, 0x5f, v0
	v_cmp_lt_u32_e64 s4, 0x7f, v0
	;; [unrolled: 1-line block ×5, first 2 shown]
	v_cmp_eq_u32_e64 s8, 0xff, v0
	v_mov_b32_e32 v6, v0
	s_add_u32 s12, s18, s14
	s_addc_u32 s14, s19, s15
	s_lshl_b32 s15, s39, 8
	s_branch .LBB52_36
.LBB52_35:                              ;   in Loop: Header=BB52_36 Depth=1
	s_or_b32 exec_lo, exec_lo, s10
	v_add_nc_u32_e32 v6, 0x100, v6
	v_add_nc_u32_e32 v3, s15, v3
	s_add_i32 s11, s11, -1
	s_delay_alu instid0(SALU_CYCLE_1)
	s_cmp_eq_u32 s11, 0
	s_cbranch_scc1 .LBB52_45
.LBB52_36:                              ; =>This Inner Loop Header: Depth=1
	v_mov_b32_e32 v4, 0
	s_mov_b32 s10, exec_lo
	v_cmpx_gt_i32_e64 s13, v6
	s_cbranch_execz .LBB52_38
; %bb.37:                               ;   in Loop: Header=BB52_36 Depth=1
	v_ashrrev_i32_e32 v7, 31, v6
	s_delay_alu instid0(VALU_DEP_1) | instskip(NEXT) | instid1(VALU_DEP_1)
	v_lshlrev_b64 v[12:13], 2, v[6:7]
	v_add_co_u32 v12, s9, s12, v12
	s_delay_alu instid0(VALU_DEP_1)
	v_add_co_ci_u32_e64 v13, s9, s14, v13, s9
	global_load_b32 v4, v[12:13], off
.LBB52_38:                              ;   in Loop: Header=BB52_36 Depth=1
	s_or_b32 exec_lo, exec_lo, s10
	s_waitcnt vmcnt(0)
	v_add_co_u32 v7, s9, v4, -1
	s_delay_alu instid0(VALU_DEP_1)
	v_cndmask_b32_e64 v12, 0, 1, s9
	s_waitcnt_vscnt null, 0x0
	s_waitcnt lgkmcnt(0)
	s_barrier
	buffer_gl0_inv
	v_mov_b32_dpp v13, v12 row_shr:1 row_mask:0xf bank_mask:0xf bound_ctrl:1
	s_delay_alu instid0(VALU_DEP_1) | instskip(NEXT) | instid1(VALU_DEP_1)
	v_add_co_ci_u32_e64 v14, s10, 0, v13, s9
	v_mov_b32_dpp v14, v14 row_shr:2 row_mask:0xf bank_mask:0xf bound_ctrl:1
	s_delay_alu instid0(VALU_DEP_1) | instskip(NEXT) | instid1(VALU_DEP_1)
	v_add_co_ci_u32_e64 v13, s10, v14, v13, s9
	v_add_nc_u32_dpp v13, v13, v13 row_shr:4 row_mask:0xf bank_mask:0xf bound_ctrl:1
	s_delay_alu instid0(VALU_DEP_1) | instskip(SKIP_3) | instid1(VALU_DEP_1)
	v_add_nc_u32_dpp v13, v13, v13 row_shr:8 row_mask:0xf bank_mask:0xf bound_ctrl:1
	ds_bpermute_b32 v14, v9, v13
	s_waitcnt lgkmcnt(0)
	v_cndmask_b32_e64 v14, 0, v14, s2
	v_add_nc_u32_e32 v13, v13, v14
	s_and_saveexec_b32 s10, vcc_lo
	s_cbranch_execz .LBB52_40
; %bb.39:                               ;   in Loop: Header=BB52_36 Depth=1
	ds_store_b32 v8, v13 offset:16
.LBB52_40:                              ;   in Loop: Header=BB52_36 Depth=1
	s_or_b32 exec_lo, exec_lo, s10
	s_waitcnt lgkmcnt(0)
	s_barrier
	buffer_gl0_inv
	ds_load_2addr_b32 v[14:15], v10 offset0:4 offset1:5
	ds_load_2addr_b32 v[16:17], v10 offset0:6 offset1:7
	;; [unrolled: 1-line block ×3, first 2 shown]
	ds_load_b32 v20, v10 offset:40
	s_waitcnt lgkmcnt(3)
	v_cndmask_b32_e64 v14, v14, 0, s0
	v_cndmask_b32_e64 v15, 0, v15, s1
	s_waitcnt lgkmcnt(2)
	v_cndmask_b32_e64 v16, 0, v16, s3
	s_delay_alu instid0(VALU_DEP_3) | instskip(SKIP_3) | instid1(VALU_DEP_3)
	v_add3_u32 v11, v13, v11, v14
	v_cndmask_b32_e64 v13, 0, v17, s4
	s_waitcnt lgkmcnt(1)
	v_cndmask_b32_e64 v14, 0, v18, s5
	v_add3_u32 v11, v11, v15, v16
	v_cndmask_b32_e64 v15, 0, v19, s6
	s_waitcnt lgkmcnt(0)
	v_cndmask_b32_e64 v16, 0, v20, s7
	s_delay_alu instid0(VALU_DEP_3) | instskip(NEXT) | instid1(VALU_DEP_1)
	v_add3_u32 v11, v11, v13, v14
	v_add3_u32 v13, v11, v15, v16
	s_and_saveexec_b32 s10, s8
	s_cbranch_execz .LBB52_42
; %bb.41:                               ;   in Loop: Header=BB52_36 Depth=1
	ds_store_b32 v10, v13
.LBB52_42:                              ;   in Loop: Header=BB52_36 Depth=1
	s_or_b32 exec_lo, exec_lo, s10
	s_waitcnt lgkmcnt(0)
	s_barrier
	buffer_gl0_inv
	ds_load_b32 v11, v10
	s_and_saveexec_b32 s10, s9
	s_cbranch_execz .LBB52_35
; %bb.43:                               ;   in Loop: Header=BB52_36 Depth=1
	v_add_nc_u32_e32 v4, v4, v3
	v_sub_nc_u32_e32 v12, v1, v12
	v_perm_b32 v7, v7, v6, 0x4020100
	s_delay_alu instid0(VALU_DEP_3) | instskip(NEXT) | instid1(VALU_DEP_3)
	v_lshlrev_b64 v[14:15], 2, v[4:5]
	v_add_nc_u32_e32 v12, v12, v13
	s_delay_alu instid0(VALU_DEP_1) | instskip(NEXT) | instid1(VALU_DEP_3)
	v_ashrrev_i32_e32 v13, 31, v12
	v_add_co_u32 v14, s9, s42, v14
	s_delay_alu instid0(VALU_DEP_1) | instskip(NEXT) | instid1(VALU_DEP_3)
	v_add_co_ci_u32_e64 v15, s9, s43, v15, s9
	v_lshlrev_b64 v[12:13], 2, v[12:13]
	global_load_b32 v4, v[14:15], off
	v_add_co_u32 v14, s9, s26, v12
	s_delay_alu instid0(VALU_DEP_1) | instskip(SKIP_1) | instid1(VALU_DEP_1)
	v_add_co_ci_u32_e64 v15, s9, s27, v13, s9
	v_add_co_u32 v12, s9, s28, v12
	v_add_co_ci_u32_e64 v13, s9, s29, v13, s9
	global_store_b32 v[14:15], v7, off
	s_waitcnt vmcnt(0)
	global_store_b32 v[12:13], v4, off
	s_branch .LBB52_35
.LBB52_44:
	v_mov_b32_e32 v11, 0
.LBB52_45:
	s_waitcnt lgkmcnt(0)
	s_delay_alu instid0(VALU_DEP_1) | instskip(SKIP_1) | instid1(VALU_DEP_1)
	v_add3_u32 v0, v11, v1, v0
	s_mov_b32 s0, exec_lo
	v_cmpx_lt_i32_e64 v0, v2
	s_cbranch_execz .LBB52_48
; %bb.46:
	v_ashrrev_i32_e32 v1, 31, v0
	s_and_b32 s0, s13, 0xffffff
	s_lshl_b32 s1, s39, 24
	v_mov_b32_e32 v7, 0
	s_or_b32 s0, s0, s1
	v_lshlrev_b64 v[5:6], 2, v[0:1]
	v_mov_b32_e32 v1, s0
	s_mov_b32 s1, 0
	s_delay_alu instid0(VALU_DEP_2) | instskip(NEXT) | instid1(VALU_DEP_3)
	v_add_co_u32 v3, vcc_lo, s26, v5
	v_add_co_ci_u32_e32 v4, vcc_lo, s27, v6, vcc_lo
	v_add_co_u32 v5, vcc_lo, s28, v5
	v_add_co_ci_u32_e32 v6, vcc_lo, s29, v6, vcc_lo
	.p2align	6
.LBB52_47:                              ; =>This Inner Loop Header: Depth=1
	v_add_nc_u32_e32 v0, 0x100, v0
	global_store_b32 v[3:4], v1, off
	global_store_b32 v[5:6], v7, off
	v_add_co_u32 v3, vcc_lo, 0x400, v3
	v_add_co_ci_u32_e32 v4, vcc_lo, 0, v4, vcc_lo
	v_cmp_ge_i32_e32 vcc_lo, v0, v2
	v_add_co_u32 v5, s0, 0x400, v5
	s_delay_alu instid0(VALU_DEP_1) | instskip(SKIP_1) | instid1(SALU_CYCLE_1)
	v_add_co_ci_u32_e64 v6, s0, 0, v6, s0
	s_or_b32 s1, vcc_lo, s1
	s_and_not1_b32 exec_lo, exec_lo, s1
	s_cbranch_execnz .LBB52_47
.LBB52_48:
	s_nop 0
	s_sendmsg sendmsg(MSG_DEALLOC_VGPRS)
	s_endpgm
	.section	.rodata,"a",@progbits
	.p2align	6, 0x0
	.amdhsa_kernel _ZN5aiter22opus_moe_sorting_entryINS_30MoeSortingMultiPhaseKernel_P23INS_19MoeSortingProblemMpIifiLi1ELb0ELb1ELb1EEEEENS4_5KargsEEEvT0_
		.amdhsa_group_segment_fixed_size 0
		.amdhsa_private_segment_fixed_size 0
		.amdhsa_kernarg_size 400
		.amdhsa_user_sgpr_count 15
		.amdhsa_user_sgpr_dispatch_ptr 0
		.amdhsa_user_sgpr_queue_ptr 0
		.amdhsa_user_sgpr_kernarg_segment_ptr 1
		.amdhsa_user_sgpr_dispatch_id 0
		.amdhsa_user_sgpr_private_segment_size 0
		.amdhsa_wavefront_size32 1
		.amdhsa_uses_dynamic_stack 0
		.amdhsa_enable_private_segment 0
		.amdhsa_system_sgpr_workgroup_id_x 1
		.amdhsa_system_sgpr_workgroup_id_y 0
		.amdhsa_system_sgpr_workgroup_id_z 0
		.amdhsa_system_sgpr_workgroup_info 0
		.amdhsa_system_vgpr_workitem_id 0
		.amdhsa_next_free_vgpr 32
		.amdhsa_next_free_sgpr 44
		.amdhsa_reserve_vcc 1
		.amdhsa_float_round_mode_32 0
		.amdhsa_float_round_mode_16_64 0
		.amdhsa_float_denorm_mode_32 3
		.amdhsa_float_denorm_mode_16_64 3
		.amdhsa_dx10_clamp 1
		.amdhsa_ieee_mode 1
		.amdhsa_fp16_overflow 0
		.amdhsa_workgroup_processor_mode 1
		.amdhsa_memory_ordered 1
		.amdhsa_forward_progress 0
		.amdhsa_shared_vgpr_count 0
		.amdhsa_exception_fp_ieee_invalid_op 0
		.amdhsa_exception_fp_denorm_src 0
		.amdhsa_exception_fp_ieee_div_zero 0
		.amdhsa_exception_fp_ieee_overflow 0
		.amdhsa_exception_fp_ieee_underflow 0
		.amdhsa_exception_fp_ieee_inexact 0
		.amdhsa_exception_int_div_zero 0
	.end_amdhsa_kernel
	.section	.text._ZN5aiter22opus_moe_sorting_entryINS_30MoeSortingMultiPhaseKernel_P23INS_19MoeSortingProblemMpIifiLi1ELb0ELb1ELb1EEEEENS4_5KargsEEEvT0_,"axG",@progbits,_ZN5aiter22opus_moe_sorting_entryINS_30MoeSortingMultiPhaseKernel_P23INS_19MoeSortingProblemMpIifiLi1ELb0ELb1ELb1EEEEENS4_5KargsEEEvT0_,comdat
.Lfunc_end52:
	.size	_ZN5aiter22opus_moe_sorting_entryINS_30MoeSortingMultiPhaseKernel_P23INS_19MoeSortingProblemMpIifiLi1ELb0ELb1ELb1EEEEENS4_5KargsEEEvT0_, .Lfunc_end52-_ZN5aiter22opus_moe_sorting_entryINS_30MoeSortingMultiPhaseKernel_P23INS_19MoeSortingProblemMpIifiLi1ELb0ELb1ELb1EEEEENS4_5KargsEEEvT0_
                                        ; -- End function
	.section	.AMDGPU.csdata,"",@progbits
; Kernel info:
; codeLenInByte = 2744
; NumSgprs: 46
; NumVgprs: 32
; ScratchSize: 0
; MemoryBound: 0
; FloatMode: 240
; IeeeMode: 1
; LDSByteSize: 0 bytes/workgroup (compile time only)
; SGPRBlocks: 5
; VGPRBlocks: 3
; NumSGPRsForWavesPerEU: 46
; NumVGPRsForWavesPerEU: 32
; Occupancy: 16
; WaveLimiterHint : 1
; COMPUTE_PGM_RSRC2:SCRATCH_EN: 0
; COMPUTE_PGM_RSRC2:USER_SGPR: 15
; COMPUTE_PGM_RSRC2:TRAP_HANDLER: 0
; COMPUTE_PGM_RSRC2:TGID_X_EN: 1
; COMPUTE_PGM_RSRC2:TGID_Y_EN: 0
; COMPUTE_PGM_RSRC2:TGID_Z_EN: 0
; COMPUTE_PGM_RSRC2:TIDIG_COMP_CNT: 0
	.section	.text._ZN5aiter22opus_moe_sorting_entryINS_32MoeSortingMultiPhaseKernel_P0_v2INS_19MoeSortingProblemMpIifiLi1ELb0ELb0ELb1EEEEENS4_5KargsEEEvT0_,"axG",@progbits,_ZN5aiter22opus_moe_sorting_entryINS_32MoeSortingMultiPhaseKernel_P0_v2INS_19MoeSortingProblemMpIifiLi1ELb0ELb0ELb1EEEEENS4_5KargsEEEvT0_,comdat
	.protected	_ZN5aiter22opus_moe_sorting_entryINS_32MoeSortingMultiPhaseKernel_P0_v2INS_19MoeSortingProblemMpIifiLi1ELb0ELb0ELb1EEEEENS4_5KargsEEEvT0_ ; -- Begin function _ZN5aiter22opus_moe_sorting_entryINS_32MoeSortingMultiPhaseKernel_P0_v2INS_19MoeSortingProblemMpIifiLi1ELb0ELb0ELb1EEEEENS4_5KargsEEEvT0_
	.globl	_ZN5aiter22opus_moe_sorting_entryINS_32MoeSortingMultiPhaseKernel_P0_v2INS_19MoeSortingProblemMpIifiLi1ELb0ELb0ELb1EEEEENS4_5KargsEEEvT0_
	.p2align	8
	.type	_ZN5aiter22opus_moe_sorting_entryINS_32MoeSortingMultiPhaseKernel_P0_v2INS_19MoeSortingProblemMpIifiLi1ELb0ELb0ELb1EEEEENS4_5KargsEEEvT0_,@function
_ZN5aiter22opus_moe_sorting_entryINS_32MoeSortingMultiPhaseKernel_P0_v2INS_19MoeSortingProblemMpIifiLi1ELb0ELb0ELb1EEEEENS4_5KargsEEEvT0_: ; @_ZN5aiter22opus_moe_sorting_entryINS_32MoeSortingMultiPhaseKernel_P0_v2INS_19MoeSortingProblemMpIifiLi1ELb0ELb0ELb1EEEEENS4_5KargsEEEvT0_
; %bb.0:
	s_mov_b32 s2, s15
	s_clause 0x4
	s_load_b128 s[4:7], s[0:1], 0x18
	s_load_b64 s[14:15], s[0:1], 0x0
	s_load_b64 s[10:11], s[0:1], 0x10
	s_load_b32 s3, s[0:1], 0x28
	s_load_b64 s[8:9], s[0:1], 0x38
	v_lshlrev_b32_e32 v7, 2, v0
	s_mov_b32 s1, exec_lo
	s_waitcnt lgkmcnt(0)
	s_mul_i32 s12, s5, s2
	s_delay_alu instid0(SALU_CYCLE_1)
	s_ashr_i32 s13, s12, 31
	v_cmpx_gt_i32_e64 s5, v0
	s_cbranch_execz .LBB53_3
; %bb.1:
	s_lshl_b64 s[16:17], s[12:13], 2
	v_dual_mov_b32 v3, 0 :: v_dual_mov_b32 v4, v0
	s_add_u32 s0, s10, s16
	s_addc_u32 s16, s11, s17
	v_add_co_u32 v1, s0, s0, v7
	s_delay_alu instid0(VALU_DEP_1)
	v_add_co_ci_u32_e64 v2, null, s16, 0, s0
	s_mov_b32 s16, 0
.LBB53_2:                               ; =>This Inner Loop Header: Depth=1
	v_add_nc_u32_e32 v4, 0x200, v4
	global_store_b32 v[1:2], v3, off
	v_add_co_u32 v1, s0, 0x800, v1
	s_delay_alu instid0(VALU_DEP_1) | instskip(SKIP_2) | instid1(SALU_CYCLE_1)
	v_add_co_ci_u32_e64 v2, s0, 0, v2, s0
	v_cmp_le_i32_e32 vcc_lo, s5, v4
	s_or_b32 s16, vcc_lo, s16
	s_and_not1_b32 exec_lo, exec_lo, s16
	s_cbranch_execnz .LBB53_2
.LBB53_3:
	s_or_b32 exec_lo, exec_lo, s1
	s_mul_i32 s4, s6, s4
	s_mov_b32 s16, exec_lo
	s_waitcnt_vscnt null, 0x0
	s_barrier
	buffer_gl0_inv
	v_cmpx_gt_i32_e64 s4, v0
	s_cbranch_execz .LBB53_8
; %bb.4:
	v_mad_u64_u32 v[1:2], null, v0, s7, 0
	v_add_co_u32 v3, s0, s14, v7
	s_lshl_b64 s[18:19], s[12:13], 2
	v_add_co_ci_u32_e64 v4, null, s15, 0, s0
	v_mov_b32_e32 v6, 0
	v_mov_b32_e32 v8, v0
	s_mov_b32 s1, 0
	s_mov_b32 s0, s7
	s_add_u32 s17, s10, s18
	s_addc_u32 s18, s11, s19
	s_sub_i32 s14, 0, s6
	s_lshl_b64 s[6:7], s[0:1], 9
	s_set_inst_prefetch_distance 0x1
	s_branch .LBB53_6
	.p2align	6
.LBB53_5:                               ;   in Loop: Header=BB53_6 Depth=1
	s_or_b32 exec_lo, exec_lo, s0
	v_add_nc_u32_e32 v8, 0x200, v8
	v_add_co_u32 v1, vcc_lo, v1, s6
	v_add_co_ci_u32_e32 v2, vcc_lo, s7, v2, vcc_lo
	s_delay_alu instid0(VALU_DEP_3) | instskip(SKIP_1) | instid1(VALU_DEP_1)
	v_cmp_le_i32_e32 vcc_lo, s4, v8
	v_add_co_u32 v3, s0, 0x800, v3
	v_add_co_ci_u32_e64 v4, s0, 0, v4, s0
	s_or_b32 s1, vcc_lo, s1
	s_delay_alu instid0(SALU_CYCLE_1)
	s_and_not1_b32 exec_lo, exec_lo, s1
	s_cbranch_execz .LBB53_8
.LBB53_6:                               ; =>This Inner Loop Header: Depth=1
	global_load_b32 v5, v[3:4], off
	s_mov_b32 s0, exec_lo
	s_waitcnt vmcnt(0)
	v_cmpx_eq_u32_e64 s2, v5
	s_cbranch_execz .LBB53_5
; %bb.7:                                ;   in Loop: Header=BB53_6 Depth=1
	v_add_nc_u32_e32 v5, v8, v2
	s_delay_alu instid0(VALU_DEP_1) | instskip(NEXT) | instid1(VALU_DEP_1)
	v_lshrrev_b32_e32 v5, s3, v5
	v_mul_lo_u32 v9, s14, v5
	s_delay_alu instid0(VALU_DEP_1) | instskip(SKIP_1) | instid1(VALU_DEP_2)
	v_add3_u32 v11, v8, v9, 1
	v_lshlrev_b64 v[9:10], 2, v[5:6]
	v_and_b32_e32 v5, 0xffff, v11
	s_delay_alu instid0(VALU_DEP_2) | instskip(NEXT) | instid1(VALU_DEP_3)
	v_add_co_u32 v9, vcc_lo, s17, v9
	v_add_co_ci_u32_e32 v10, vcc_lo, s18, v10, vcc_lo
	global_store_b32 v[9:10], v5, off
	s_branch .LBB53_5
.LBB53_8:
	s_set_inst_prefetch_distance 0x2
	s_or_b32 exec_lo, exec_lo, s16
	s_cmp_lt_i32 s5, 1
	s_waitcnt_vscnt null, 0x0
	s_barrier
	buffer_gl0_inv
	s_cbranch_scc1 .LBB53_13
; %bb.9:
	v_mbcnt_lo_u32_b32 v1, -1, 0
	s_add_i32 s0, s5, 0x1ff
	s_lshl_b64 s[6:7], s[12:13], 2
	s_lshr_b32 s1, s0, 9
	s_add_u32 s0, s10, s6
	v_lshlrev_b32_e32 v1, 2, v1
	s_addc_u32 s3, s11, s7
	v_mov_b32_e32 v3, 0
	s_delay_alu instid0(VALU_DEP_2)
	v_xor_b32_e32 v4, 4, v1
	v_xor_b32_e32 v5, 8, v1
	;; [unrolled: 1-line block ×5, first 2 shown]
	v_add_co_u32 v1, s0, s0, v7
	s_delay_alu instid0(VALU_DEP_1)
	v_add_co_ci_u32_e64 v2, null, s3, 0, s0
	v_mov_b32_e32 v7, v0
	s_set_inst_prefetch_distance 0x1
	s_branch .LBB53_11
	.p2align	6
.LBB53_10:                              ;   in Loop: Header=BB53_11 Depth=1
	s_or_b32 exec_lo, exec_lo, s0
	s_waitcnt vmcnt(0)
	v_cmp_ne_u32_e32 vcc_lo, 0, v10
	v_add_nc_u32_e32 v7, 0x200, v7
	s_add_i32 s1, s1, -1
	s_delay_alu instid0(SALU_CYCLE_1)
	s_cmp_eq_u32 s1, 0
	v_cndmask_b32_e64 v10, 0, 1, vcc_lo
	ds_bpermute_b32 v10, v4, v10
	s_waitcnt lgkmcnt(0)
	v_add_co_ci_u32_e64 v11, s0, 0, v10, vcc_lo
	ds_bpermute_b32 v11, v5, v11
	s_waitcnt lgkmcnt(0)
	v_add_co_ci_u32_e32 v10, vcc_lo, v11, v10, vcc_lo
	v_add_co_u32 v1, vcc_lo, 0x800, v1
	v_add_co_ci_u32_e32 v2, vcc_lo, 0, v2, vcc_lo
	ds_bpermute_b32 v11, v6, v10
	s_waitcnt lgkmcnt(0)
	v_add_nc_u32_e32 v10, v10, v11
	ds_bpermute_b32 v11, v8, v10
	s_waitcnt lgkmcnt(0)
	v_add_nc_u32_e32 v10, v10, v11
	ds_bpermute_b32 v11, v9, v10
	s_waitcnt lgkmcnt(0)
	v_add3_u32 v3, v11, v3, v10
	s_cbranch_scc1 .LBB53_14
.LBB53_11:                              ; =>This Inner Loop Header: Depth=1
	v_mov_b32_e32 v10, 0
	s_mov_b32 s0, exec_lo
	v_cmpx_gt_i32_e64 s5, v7
	s_cbranch_execz .LBB53_10
; %bb.12:                               ;   in Loop: Header=BB53_11 Depth=1
	global_load_b32 v10, v[1:2], off
	s_branch .LBB53_10
.LBB53_13:
	v_mov_b32_e32 v3, 0
.LBB53_14:
	s_set_inst_prefetch_distance 0x2
	v_and_b32_e32 v1, 31, v0
	s_mov_b32 s0, exec_lo
	s_delay_alu instid0(VALU_DEP_1)
	v_cmpx_eq_u32_e32 0, v1
	s_cbranch_execz .LBB53_16
; %bb.15:
	v_lshrrev_b32_e32 v1, 3, v0
	s_delay_alu instid0(VALU_DEP_1)
	v_and_b32_e32 v1, 0x7c, v1
	ds_store_b32 v1, v3
.LBB53_16:
	s_or_b32 exec_lo, exec_lo, s0
	s_waitcnt lgkmcnt(0)
	s_barrier
	buffer_gl0_inv
	s_mov_b32 s0, exec_lo
	v_cmpx_eq_u32_e32 0, v0
	s_cbranch_execz .LBB53_18
; %bb.17:
	v_mov_b32_e32 v8, 0
	s_ashr_i32 s3, s2, 31
	ds_load_b128 v[0:3], v8
	ds_load_b128 v[4:7], v8 offset:16
	s_lshl_b64 s[0:1], s[2:3], 2
	s_delay_alu instid0(SALU_CYCLE_1) | instskip(SKIP_3) | instid1(VALU_DEP_1)
	s_add_u32 s0, s8, s0
	s_addc_u32 s1, s9, s1
	s_waitcnt lgkmcnt(1)
	v_add_nc_u32_e32 v0, v1, v0
	v_add_nc_u32_e32 v0, v0, v2
	s_delay_alu instid0(VALU_DEP_1) | instskip(SKIP_1) | instid1(VALU_DEP_1)
	v_add_nc_u32_e32 v0, v0, v3
	s_waitcnt lgkmcnt(0)
	v_add_nc_u32_e32 v4, v0, v4
	s_delay_alu instid0(VALU_DEP_1) | instskip(NEXT) | instid1(VALU_DEP_1)
	v_add_nc_u32_e32 v4, v4, v5
	v_add_nc_u32_e32 v4, v4, v6
	s_delay_alu instid0(VALU_DEP_1) | instskip(SKIP_4) | instid1(VALU_DEP_1)
	v_add_nc_u32_e32 v9, v4, v7
	ds_load_b128 v[0:3], v8 offset:32
	ds_load_b128 v[4:7], v8 offset:48
	s_waitcnt lgkmcnt(1)
	v_add_nc_u32_e32 v0, v9, v0
	v_add_nc_u32_e32 v0, v0, v1
	s_delay_alu instid0(VALU_DEP_1) | instskip(NEXT) | instid1(VALU_DEP_1)
	v_add_nc_u32_e32 v0, v0, v2
	v_add_nc_u32_e32 v0, v0, v3
	s_waitcnt lgkmcnt(0)
	s_delay_alu instid0(VALU_DEP_1) | instskip(NEXT) | instid1(VALU_DEP_1)
	v_add_nc_u32_e32 v0, v0, v4
	v_add_nc_u32_e32 v0, v0, v5
	s_delay_alu instid0(VALU_DEP_1) | instskip(NEXT) | instid1(VALU_DEP_1)
	v_add_nc_u32_e32 v0, v0, v6
	v_add_nc_u32_e32 v0, v0, v7
	global_store_b32 v8, v0, s[0:1]
.LBB53_18:
	s_nop 0
	s_sendmsg sendmsg(MSG_DEALLOC_VGPRS)
	s_endpgm
	.section	.rodata,"a",@progbits
	.p2align	6, 0x0
	.amdhsa_kernel _ZN5aiter22opus_moe_sorting_entryINS_32MoeSortingMultiPhaseKernel_P0_v2INS_19MoeSortingProblemMpIifiLi1ELb0ELb0ELb1EEEEENS4_5KargsEEEvT0_
		.amdhsa_group_segment_fixed_size 64
		.amdhsa_private_segment_fixed_size 0
		.amdhsa_kernarg_size 72
		.amdhsa_user_sgpr_count 15
		.amdhsa_user_sgpr_dispatch_ptr 0
		.amdhsa_user_sgpr_queue_ptr 0
		.amdhsa_user_sgpr_kernarg_segment_ptr 1
		.amdhsa_user_sgpr_dispatch_id 0
		.amdhsa_user_sgpr_private_segment_size 0
		.amdhsa_wavefront_size32 1
		.amdhsa_uses_dynamic_stack 0
		.amdhsa_enable_private_segment 0
		.amdhsa_system_sgpr_workgroup_id_x 1
		.amdhsa_system_sgpr_workgroup_id_y 0
		.amdhsa_system_sgpr_workgroup_id_z 0
		.amdhsa_system_sgpr_workgroup_info 0
		.amdhsa_system_vgpr_workitem_id 0
		.amdhsa_next_free_vgpr 12
		.amdhsa_next_free_sgpr 20
		.amdhsa_reserve_vcc 1
		.amdhsa_float_round_mode_32 0
		.amdhsa_float_round_mode_16_64 0
		.amdhsa_float_denorm_mode_32 3
		.amdhsa_float_denorm_mode_16_64 3
		.amdhsa_dx10_clamp 1
		.amdhsa_ieee_mode 1
		.amdhsa_fp16_overflow 0
		.amdhsa_workgroup_processor_mode 1
		.amdhsa_memory_ordered 1
		.amdhsa_forward_progress 0
		.amdhsa_shared_vgpr_count 0
		.amdhsa_exception_fp_ieee_invalid_op 0
		.amdhsa_exception_fp_denorm_src 0
		.amdhsa_exception_fp_ieee_div_zero 0
		.amdhsa_exception_fp_ieee_overflow 0
		.amdhsa_exception_fp_ieee_underflow 0
		.amdhsa_exception_fp_ieee_inexact 0
		.amdhsa_exception_int_div_zero 0
	.end_amdhsa_kernel
	.section	.text._ZN5aiter22opus_moe_sorting_entryINS_32MoeSortingMultiPhaseKernel_P0_v2INS_19MoeSortingProblemMpIifiLi1ELb0ELb0ELb1EEEEENS4_5KargsEEEvT0_,"axG",@progbits,_ZN5aiter22opus_moe_sorting_entryINS_32MoeSortingMultiPhaseKernel_P0_v2INS_19MoeSortingProblemMpIifiLi1ELb0ELb0ELb1EEEEENS4_5KargsEEEvT0_,comdat
.Lfunc_end53:
	.size	_ZN5aiter22opus_moe_sorting_entryINS_32MoeSortingMultiPhaseKernel_P0_v2INS_19MoeSortingProblemMpIifiLi1ELb0ELb0ELb1EEEEENS4_5KargsEEEvT0_, .Lfunc_end53-_ZN5aiter22opus_moe_sorting_entryINS_32MoeSortingMultiPhaseKernel_P0_v2INS_19MoeSortingProblemMpIifiLi1ELb0ELb0ELb1EEEEENS4_5KargsEEEvT0_
                                        ; -- End function
	.section	.AMDGPU.csdata,"",@progbits
; Kernel info:
; codeLenInByte = 1032
; NumSgprs: 22
; NumVgprs: 12
; ScratchSize: 0
; MemoryBound: 0
; FloatMode: 240
; IeeeMode: 1
; LDSByteSize: 64 bytes/workgroup (compile time only)
; SGPRBlocks: 2
; VGPRBlocks: 1
; NumSGPRsForWavesPerEU: 22
; NumVGPRsForWavesPerEU: 12
; Occupancy: 16
; WaveLimiterHint : 0
; COMPUTE_PGM_RSRC2:SCRATCH_EN: 0
; COMPUTE_PGM_RSRC2:USER_SGPR: 15
; COMPUTE_PGM_RSRC2:TRAP_HANDLER: 0
; COMPUTE_PGM_RSRC2:TGID_X_EN: 1
; COMPUTE_PGM_RSRC2:TGID_Y_EN: 0
; COMPUTE_PGM_RSRC2:TGID_Z_EN: 0
; COMPUTE_PGM_RSRC2:TIDIG_COMP_CNT: 0
	.section	.text._ZN5aiter22opus_moe_sorting_entryINS_30MoeSortingMultiPhaseKernel_P23INS_19MoeSortingProblemMpIifiLi1ELb0ELb0ELb1EEEEENS4_5KargsEEEvT0_,"axG",@progbits,_ZN5aiter22opus_moe_sorting_entryINS_30MoeSortingMultiPhaseKernel_P23INS_19MoeSortingProblemMpIifiLi1ELb0ELb0ELb1EEEEENS4_5KargsEEEvT0_,comdat
	.protected	_ZN5aiter22opus_moe_sorting_entryINS_30MoeSortingMultiPhaseKernel_P23INS_19MoeSortingProblemMpIifiLi1ELb0ELb0ELb1EEEEENS4_5KargsEEEvT0_ ; -- Begin function _ZN5aiter22opus_moe_sorting_entryINS_30MoeSortingMultiPhaseKernel_P23INS_19MoeSortingProblemMpIifiLi1ELb0ELb0ELb1EEEEENS4_5KargsEEEvT0_
	.globl	_ZN5aiter22opus_moe_sorting_entryINS_30MoeSortingMultiPhaseKernel_P23INS_19MoeSortingProblemMpIifiLi1ELb0ELb0ELb1EEEEENS4_5KargsEEEvT0_
	.p2align	8
	.type	_ZN5aiter22opus_moe_sorting_entryINS_30MoeSortingMultiPhaseKernel_P23INS_19MoeSortingProblemMpIifiLi1ELb0ELb0ELb1EEEEENS4_5KargsEEEvT0_,@function
_ZN5aiter22opus_moe_sorting_entryINS_30MoeSortingMultiPhaseKernel_P23INS_19MoeSortingProblemMpIifiLi1ELb0ELb0ELb1EEEEENS4_5KargsEEEvT0_: ; @_ZN5aiter22opus_moe_sorting_entryINS_30MoeSortingMultiPhaseKernel_P23INS_19MoeSortingProblemMpIifiLi1ELb0ELb0ELb1EEEEENS4_5KargsEEEvT0_
; %bb.0:
	s_clause 0x1
	s_load_b128 s[36:39], s[0:1], 0x60
	s_load_b512 s[16:31], s[0:1], 0x20
	s_mov_b32 s3, -1
	s_waitcnt lgkmcnt(0)
	s_cmp_lt_i32 s15, s37
	s_cbranch_scc1 .LBB54_5
; %bb.1:
	s_load_b64 s[2:3], s[0:1], 0x84
	v_mov_b32_e32 v2, 0
	s_mov_b32 s10, exec_lo
	s_waitcnt lgkmcnt(0)
	s_ashr_i32 s4, s2, 31
	s_mul_i32 s5, s3, s36
	s_mul_hi_i32 s3, s3, s36
	s_mul_i32 s4, s5, s4
	s_mul_hi_u32 s6, s5, s2
	s_mul_i32 s3, s3, s2
	s_add_i32 s4, s6, s4
	s_mul_i32 s5, s5, s2
	s_add_i32 s4, s4, s3
	s_sub_i32 s3, s15, s37
	s_ashr_i32 s6, s4, 31
	v_lshl_add_u32 v1, s3, 8, v0
	s_lshr_b32 s2, s6, 28
	s_delay_alu instid0(SALU_CYCLE_1) | instskip(SKIP_1) | instid1(SALU_CYCLE_1)
	s_add_u32 s2, s5, s2
	s_addc_u32 s3, s4, 0
	s_ashr_i64 s[4:5], s[2:3], 4
	s_mov_b32 s3, 0
	v_cmpx_gt_i64_e64 s[4:5], v[1:2]
	s_cbranch_execz .LBB54_4
; %bb.2:
	s_load_b32 s2, s[0:1], 0x90
	v_lshlrev_b64 v[7:8], 4, v[1:2]
	v_dual_mov_b32 v6, v2 :: v_dual_mov_b32 v5, v1
	v_mov_b32_e32 v1, v2
	v_mov_b32_e32 v3, v2
	;; [unrolled: 1-line block ×3, first 2 shown]
	v_add_co_u32 v7, vcc_lo, s28, v7
	v_add_co_ci_u32_e32 v8, vcc_lo, s29, v8, vcc_lo
	s_mov_b32 s11, 0
	s_waitcnt lgkmcnt(0)
	s_sub_i32 s2, s2, s37
	s_delay_alu instid0(SALU_CYCLE_1) | instskip(NEXT) | instid1(SALU_CYCLE_1)
	s_lshl_b32 s6, s2, 8
	s_ashr_i32 s7, s6, 31
	s_delay_alu instid0(SALU_CYCLE_1)
	s_lshl_b64 s[8:9], s[6:7], 4
.LBB54_3:                               ; =>This Inner Loop Header: Depth=1
	v_add_co_u32 v5, vcc_lo, v5, s6
	v_add_co_ci_u32_e32 v6, vcc_lo, s7, v6, vcc_lo
	global_store_b128 v[7:8], v[1:4], off
	v_add_co_u32 v7, s2, v7, s8
	v_cmp_le_i64_e32 vcc_lo, s[4:5], v[5:6]
	v_add_co_ci_u32_e64 v8, s2, s9, v8, s2
	s_or_b32 s11, vcc_lo, s11
	s_delay_alu instid0(SALU_CYCLE_1)
	s_and_not1_b32 exec_lo, exec_lo, s11
	s_cbranch_execnz .LBB54_3
.LBB54_4:
	s_or_b32 exec_lo, exec_lo, s10
.LBB54_5:
	s_delay_alu instid0(SALU_CYCLE_1)
	s_and_not1_b32 vcc_lo, exec_lo, s3
	s_cbranch_vccnz .LBB54_48
; %bb.6:
	s_load_b128 s[40:43], s[0:1], 0x70
	s_lshl_b32 s2, s37, 2
	v_lshrrev_b32_e32 v6, 5, v0
	s_add_i32 s13, s2, 0
	v_and_b32_e32 v7, 31, v0
	s_addk_i32 s13, 0x50
	s_cmp_lt_i32 s37, 1
	s_mov_b32 s14, 0
	s_cbranch_scc1 .LBB54_22
; %bb.7:
	v_mbcnt_lo_u32_b32 v1, -1, 0
	s_add_i32 s9, s37, 0xff
	s_add_i32 s28, s39, -1
	s_lshr_b32 s29, s9, 8
	s_cmp_lg_u64 s[30:31], 0
	v_dual_mov_b32 v11, 0 :: v_dual_lshlrev_b32 v2, 2, v1
	v_cmp_eq_u32_e64 s2, 31, v7
	v_lshl_add_u32 v8, v6, 2, 0
	v_cmp_gt_u32_e64 s3, 32, v0
	s_delay_alu instid0(VALU_DEP_4)
	v_dual_mov_b32 v5, 0 :: v_dual_and_b32 v2, 64, v2
	v_cmp_lt_u32_e64 s4, 63, v0
	v_cmp_lt_u32_e64 s5, 0x5f, v0
	;; [unrolled: 1-line block ×6, first 2 shown]
	v_dual_mov_b32 v10, 0 :: v_dual_add_nc_u32 v9, -4, v2
	v_cmp_lt_u32_e64 s10, 0xdf, v0
	v_cmp_eq_u32_e64 s11, 0xff, v0
	v_mov_b32_e32 v2, 0
	s_cselect_b32 s33, -1, 0
	s_cmp_eq_u32 s15, 0
	s_cselect_b32 s34, -1, 0
	s_add_i32 s35, s13, 4
.LBB54_8:                               ; =>This Loop Header: Depth=1
                                        ;     Child Loop BB54_19 Depth 2
	v_lshl_add_u32 v3, s14, 8, v0
	v_mov_b32_e32 v1, 0
	s_delay_alu instid0(VALU_DEP_2)
	v_cmp_gt_i32_e32 vcc_lo, s37, v3
	s_waitcnt lgkmcnt(0)
	s_and_saveexec_b32 s43, vcc_lo
	s_cbranch_execz .LBB54_10
; %bb.9:                                ;   in Loop: Header=BB54_8 Depth=1
	v_ashrrev_i32_e32 v4, 31, v3
	s_delay_alu instid0(VALU_DEP_1) | instskip(NEXT) | instid1(VALU_DEP_1)
	v_lshlrev_b64 v[12:13], 2, v[3:4]
	v_add_co_u32 v12, s12, s18, v12
	s_delay_alu instid0(VALU_DEP_1)
	v_add_co_ci_u32_e64 v13, s12, s19, v13, s12
	global_load_b32 v1, v[12:13], off
.LBB54_10:                              ;   in Loop: Header=BB54_8 Depth=1
	s_or_b32 exec_lo, exec_lo, s43
	s_waitcnt vmcnt(0)
	v_add_nc_u32_e32 v1, s28, v1
	v_mov_b32_dpp v15, v11 row_shr:1 row_mask:0xf bank_mask:0xf bound_ctrl:1
	s_waitcnt_vscnt null, 0x0
	s_barrier
	buffer_gl0_inv
	v_mul_hi_u32 v4, v1, s40
	v_add_nc_u32_dpp v16, v15, v15 row_shr:2 row_mask:0xf bank_mask:0xf bound_ctrl:1
	s_delay_alu instid0(VALU_DEP_1) | instskip(NEXT) | instid1(VALU_DEP_3)
	v_add_nc_u32_dpp v16, v16, v16 row_shr:4 row_mask:0xf bank_mask:0xf bound_ctrl:1
	v_add_nc_u32_e32 v1, v1, v4
	s_delay_alu instid0(VALU_DEP_2) | instskip(NEXT) | instid1(VALU_DEP_2)
	v_add_nc_u32_dpp v17, v16, v16 row_shr:8 row_mask:0xf bank_mask:0xf bound_ctrl:1
	v_lshrrev_b32_e32 v12, s41, v1
	ds_bpermute_b32 v18, v9, v17
	v_mov_b32_dpp v4, v12 row_shr:1 row_mask:0xf bank_mask:0xf bound_ctrl:1
	s_delay_alu instid0(VALU_DEP_1) | instskip(NEXT) | instid1(VALU_DEP_1)
	v_add_nc_u32_e32 v1, v12, v4
	v_mov_b32_dpp v13, v1 row_shr:2 row_mask:0xf bank_mask:0xf bound_ctrl:1
	s_delay_alu instid0(VALU_DEP_1) | instskip(SKIP_2) | instid1(VALU_DEP_2)
	v_add_nc_u32_e32 v1, v1, v13
	s_waitcnt lgkmcnt(0)
	v_cndmask_b32_e64 v18, 0, v18, s9
	v_mov_b32_dpp v14, v1 row_shr:4 row_mask:0xf bank_mask:0xf bound_ctrl:1
	s_delay_alu instid0(VALU_DEP_1) | instskip(NEXT) | instid1(VALU_DEP_1)
	v_add_nc_u32_e32 v1, v1, v14
	v_mov_b32_dpp v15, v1 row_shr:8 row_mask:0xf bank_mask:0xf bound_ctrl:1
	s_delay_alu instid0(VALU_DEP_1) | instskip(SKIP_3) | instid1(VALU_DEP_1)
	v_add_nc_u32_e32 v1, v1, v15
	ds_bpermute_b32 v16, v9, v1
	s_waitcnt lgkmcnt(0)
	v_cndmask_b32_e64 v16, 0, v16, s9
	v_add_nc_u32_e32 v20, v1, v16
	v_add_nc_u32_e32 v1, v18, v17
	s_and_saveexec_b32 s12, s2
	s_cbranch_execz .LBB54_12
; %bb.11:                               ;   in Loop: Header=BB54_8 Depth=1
	ds_store_2addr_b32 v8, v20, v1 offset0:4 offset1:12
.LBB54_12:                              ;   in Loop: Header=BB54_8 Depth=1
	s_or_b32 exec_lo, exec_lo, s12
	s_waitcnt lgkmcnt(0)
	s_barrier
	buffer_gl0_inv
	ds_load_2addr_b32 v[17:18], v10 offset0:4 offset1:5
	ds_load_2addr_b32 v[21:22], v10 offset0:6 offset1:7
	;; [unrolled: 1-line block ×3, first 2 shown]
	ds_load_b32 v25, v10 offset:40
	s_waitcnt lgkmcnt(3)
	v_cndmask_b32_e64 v17, v17, 0, s3
	v_cndmask_b32_e64 v18, 0, v18, s4
	s_waitcnt lgkmcnt(2)
	v_cndmask_b32_e64 v19, 0, v21, s5
	s_waitcnt lgkmcnt(1)
	;; [unrolled: 2-line block ×3, first 2 shown]
	v_cndmask_b32_e64 v23, 0, v25, s10
	v_add3_u32 v26, v20, v5, v17
	v_cndmask_b32_e64 v20, 0, v22, s6
	v_cndmask_b32_e64 v22, 0, v24, s8
	s_delay_alu instid0(VALU_DEP_3) | instskip(NEXT) | instid1(VALU_DEP_1)
	v_add3_u32 v26, v26, v18, v19
	v_add3_u32 v24, v26, v20, v21
	s_delay_alu instid0(VALU_DEP_1)
	v_add3_u32 v24, v24, v22, v23
	s_and_saveexec_b32 s12, s11
	s_cbranch_execz .LBB54_14
; %bb.13:                               ;   in Loop: Header=BB54_8 Depth=1
	ds_load_2addr_b32 v[25:26], v10 offset0:16 offset1:17
	ds_load_b32 v31, v10 offset:72
	ds_load_2addr_b32 v[27:28], v10 offset0:14 offset1:15
	ds_load_2addr_b32 v[29:30], v10 offset0:12 offset1:13
	s_waitcnt lgkmcnt(2)
	v_add_nc_u32_e32 v26, v31, v26
	s_delay_alu instid0(VALU_DEP_1) | instskip(SKIP_1) | instid1(VALU_DEP_1)
	v_add_nc_u32_e32 v25, v26, v25
	s_waitcnt lgkmcnt(1)
	v_add_nc_u32_e32 v25, v25, v28
	s_delay_alu instid0(VALU_DEP_1) | instskip(SKIP_1) | instid1(VALU_DEP_1)
	v_add_nc_u32_e32 v25, v25, v27
	s_waitcnt lgkmcnt(0)
	v_add_nc_u32_e32 v25, v25, v30
	s_delay_alu instid0(VALU_DEP_1) | instskip(NEXT) | instid1(VALU_DEP_1)
	v_add_nc_u32_e32 v25, v25, v29
	v_add3_u32 v1, v25, v2, v1
	ds_store_2addr_b32 v10, v24, v1 offset0:2 offset1:3
.LBB54_14:                              ;   in Loop: Header=BB54_8 Depth=1
	s_or_b32 exec_lo, exec_lo, s12
	s_waitcnt lgkmcnt(0)
	s_barrier
	buffer_gl0_inv
	ds_load_2addr_b32 v[1:2], v10 offset0:2 offset1:3
	s_and_saveexec_b32 s12, vcc_lo
	s_cbranch_execz .LBB54_17
; %bb.15:                               ;   in Loop: Header=BB54_8 Depth=1
	v_sub_nc_u32_e32 v24, v24, v12
	v_lshl_add_u32 v25, v3, 2, 0
	s_and_not1_b32 vcc_lo, exec_lo, s33
	s_delay_alu instid0(VALU_DEP_2)
	v_mul_lo_u32 v24, v24, s39
	ds_store_b32 v25, v24 offset:80
	s_cbranch_vccnz .LBB54_17
; %bb.16:                               ;   in Loop: Header=BB54_8 Depth=1
	v_lshl_add_u32 v24, v3, 2, s35
	ds_store_b32 v24, v3
.LBB54_17:                              ;   in Loop: Header=BB54_8 Depth=1
	s_or_b32 exec_lo, exec_lo, s12
	v_cmp_lt_i32_e32 vcc_lo, 0, v12
	s_and_b32 s12, s34, vcc_lo
	s_delay_alu instid0(SALU_CYCLE_1)
	s_and_saveexec_b32 s43, s12
	s_cbranch_execz .LBB54_20
; %bb.18:                               ;   in Loop: Header=BB54_8 Depth=1
	v_add3_u32 v16, v16, v18, v19
	s_mov_b32 s44, 0
	s_delay_alu instid0(VALU_DEP_1) | instskip(NEXT) | instid1(VALU_DEP_1)
	v_add3_u32 v16, v16, v20, v21
	v_add3_u32 v16, v16, v22, v23
	s_delay_alu instid0(VALU_DEP_1) | instskip(NEXT) | instid1(VALU_DEP_1)
	v_add3_u32 v4, v16, v17, v4
	v_add3_u32 v4, v4, v13, v14
	s_delay_alu instid0(VALU_DEP_1)
	v_add3_u32 v4, v4, v15, v5
.LBB54_19:                              ;   Parent Loop BB54_8 Depth=1
                                        ; =>  This Inner Loop Header: Depth=2
	s_delay_alu instid0(VALU_DEP_1) | instskip(SKIP_1) | instid1(VALU_DEP_2)
	v_ashrrev_i32_e32 v5, 31, v4
	v_add_nc_u32_e32 v12, -1, v12
	v_lshlrev_b64 v[13:14], 2, v[4:5]
	s_delay_alu instid0(VALU_DEP_2) | instskip(SKIP_2) | instid1(VALU_DEP_3)
	v_cmp_eq_u32_e32 vcc_lo, 0, v12
	v_add_nc_u32_e32 v4, 1, v4
	s_or_b32 s44, vcc_lo, s44
	v_add_co_u32 v13, s12, s22, v13
	s_delay_alu instid0(VALU_DEP_1)
	v_add_co_ci_u32_e64 v14, s12, s23, v14, s12
	global_store_b32 v[13:14], v3, off
	s_and_not1_b32 exec_lo, exec_lo, s44
	s_cbranch_execnz .LBB54_19
.LBB54_20:                              ;   in Loop: Header=BB54_8 Depth=1
	s_or_b32 exec_lo, exec_lo, s43
	s_add_i32 s14, s14, 1
	s_delay_alu instid0(SALU_CYCLE_1)
	s_cmp_eq_u32 s14, s29
	s_cbranch_scc1 .LBB54_23
; %bb.21:                               ;   in Loop: Header=BB54_8 Depth=1
	s_waitcnt lgkmcnt(0)
	v_mov_b32_e32 v5, v1
	s_branch .LBB54_8
.LBB54_22:
	v_mov_b32_e32 v1, 0
.LBB54_23:
	s_load_b128 s[44:47], s[0:1], 0x0
	s_mov_b32 s0, exec_lo
	v_cmpx_eq_u32_e32 0, v0
	s_cbranch_execz .LBB54_27
; %bb.24:
	s_waitcnt lgkmcnt(0)
	v_mul_lo_u32 v1, v1, s39
	s_cmp_lg_u32 s15, 0
	s_cbranch_scc1 .LBB54_26
; %bb.25:
	v_dual_mov_b32 v3, 0 :: v_dual_mov_b32 v2, s36
	global_store_b64 v3, v[1:2], s[20:21]
.LBB54_26:
	v_mov_b32_e32 v2, s13
	ds_store_b32 v2, v1
.LBB54_27:
	s_or_b32 exec_lo, exec_lo, s0
	s_cmp_eq_u64 s[30:31], 0
	s_waitcnt lgkmcnt(0)
	s_waitcnt_vscnt null, 0x0
	s_cselect_b32 s0, -1, 0
	s_cmp_lg_u32 s15, 0
	s_barrier
	s_cselect_b32 s1, -1, 0
	buffer_gl0_inv
	s_or_b32 s0, s1, s0
	s_delay_alu instid0(SALU_CYCLE_1)
	s_and_b32 vcc_lo, exec_lo, s0
	s_cbranch_vccnz .LBB54_32
; %bb.28:
	s_mul_i32 s1, s42, s36
	s_mov_b32 s2, exec_lo
	v_cmpx_gt_i32_e64 s1, v0
	s_cbranch_execz .LBB54_31
; %bb.29:
	v_lshlrev_b32_e32 v3, 2, v0
	v_mov_b32_e32 v5, v0
	s_mov_b32 s3, 0
	s_delay_alu instid0(VALU_DEP_2) | instskip(NEXT) | instid1(VALU_DEP_1)
	v_add_co_u32 v1, s0, s44, v3
	v_add_co_ci_u32_e64 v2, null, s45, 0, s0
	v_add_co_u32 v3, s0, s30, v3
	s_delay_alu instid0(VALU_DEP_1)
	v_add_co_ci_u32_e64 v4, null, s31, 0, s0
	.p2align	6
.LBB54_30:                              ; =>This Inner Loop Header: Depth=1
	global_load_b32 v8, v[1:2], off
	v_add_nc_u32_e32 v5, 0x100, v5
	v_add_co_u32 v1, vcc_lo, 0x400, v1
	v_add_co_ci_u32_e32 v2, vcc_lo, 0, v2, vcc_lo
	s_delay_alu instid0(VALU_DEP_3) | instskip(SKIP_4) | instid1(VALU_DEP_1)
	v_cmp_le_i32_e32 vcc_lo, s1, v5
	s_or_b32 s3, vcc_lo, s3
	s_waitcnt vmcnt(0)
	v_max_i32_e32 v9, -1, v8
	v_cmp_gt_i32_e64 s0, s37, v8
	v_cndmask_b32_e64 v8, -1, v9, s0
	global_store_b32 v[3:4], v8, off
	v_add_co_u32 v3, s0, 0x400, v3
	s_delay_alu instid0(VALU_DEP_1)
	v_add_co_ci_u32_e64 v4, s0, 0, v4, s0
	s_and_not1_b32 exec_lo, exec_lo, s3
	s_cbranch_execnz .LBB54_30
.LBB54_31:
	s_or_b32 exec_lo, exec_lo, s2
.LBB54_32:
	s_lshl_b32 s0, s15, 2
	s_delay_alu instid0(SALU_CYCLE_1) | instskip(NEXT) | instid1(SALU_CYCLE_1)
	s_add_i32 s0, s0, 0
	v_mov_b32_e32 v1, s0
	ds_load_2addr_b32 v[1:2], v1 offset0:20 offset1:21
	s_waitcnt lgkmcnt(0)
	v_cmp_eq_u32_e32 vcc_lo, v1, v2
	s_cbranch_vccnz .LBB54_48
; %bb.33:
	s_cmp_lt_i32 s38, 1
	s_cbranch_scc1 .LBB54_44
; %bb.34:
	v_mbcnt_lo_u32_b32 v3, -1, 0
	s_mul_i32 s4, s38, s15
	s_add_i32 s6, s38, 0xff
	s_ashr_i32 s5, s4, 31
	v_cmp_eq_u32_e32 vcc_lo, 31, v7
	v_dual_mov_b32 v5, 0 :: v_dual_lshlrev_b32 v4, 2, v3
	s_lshl_b64 s[12:13], s[4:5], 2
	v_cmp_lt_u32_e64 s4, 15, v3
	v_lshl_add_u32 v8, v6, 2, 0
	s_delay_alu instid0(VALU_DEP_3) | instskip(SKIP_3) | instid1(VALU_DEP_4)
	v_dual_mov_b32 v11, 0 :: v_dual_and_b32 v4, 64, v4
	v_cmp_gt_u32_e64 s0, 32, v0
	v_cmp_lt_u32_e64 s1, 63, v0
	v_cmp_lt_u32_e64 s2, 0x5f, v0
	v_dual_mov_b32 v10, 0 :: v_dual_add_nc_u32 v9, -4, v4
	v_mad_u64_u32 v[3:4], null, v0, s42, -1
	v_cmp_lt_u32_e64 s3, 0x7f, v0
	s_lshr_b32 s11, s6, 8
	v_cmp_lt_u32_e64 s5, 0x9f, v0
	v_cmp_lt_u32_e64 s6, 0xbf, v0
	;; [unrolled: 1-line block ×3, first 2 shown]
	v_cmp_eq_u32_e64 s8, 0xff, v0
	v_mov_b32_e32 v6, v0
	s_add_u32 s12, s16, s12
	s_addc_u32 s13, s17, s13
	s_lshl_b32 s14, s42, 8
	s_branch .LBB54_36
.LBB54_35:                              ;   in Loop: Header=BB54_36 Depth=1
	s_or_b32 exec_lo, exec_lo, s10
	v_add_nc_u32_e32 v6, 0x100, v6
	v_add_nc_u32_e32 v3, s14, v3
	s_add_i32 s11, s11, -1
	s_delay_alu instid0(SALU_CYCLE_1)
	s_cmp_eq_u32 s11, 0
	s_cbranch_scc1 .LBB54_45
.LBB54_36:                              ; =>This Inner Loop Header: Depth=1
	v_mov_b32_e32 v4, 0
	s_mov_b32 s10, exec_lo
	v_cmpx_gt_i32_e64 s36, v6
	s_cbranch_execz .LBB54_38
; %bb.37:                               ;   in Loop: Header=BB54_36 Depth=1
	v_ashrrev_i32_e32 v7, 31, v6
	s_delay_alu instid0(VALU_DEP_1) | instskip(NEXT) | instid1(VALU_DEP_1)
	v_lshlrev_b64 v[12:13], 2, v[6:7]
	v_add_co_u32 v12, s9, s12, v12
	s_delay_alu instid0(VALU_DEP_1)
	v_add_co_ci_u32_e64 v13, s9, s13, v13, s9
	global_load_b32 v4, v[12:13], off
.LBB54_38:                              ;   in Loop: Header=BB54_36 Depth=1
	s_or_b32 exec_lo, exec_lo, s10
	s_waitcnt vmcnt(0)
	v_add_co_u32 v7, s9, v4, -1
	s_delay_alu instid0(VALU_DEP_1)
	v_cndmask_b32_e64 v12, 0, 1, s9
	s_waitcnt_vscnt null, 0x0
	s_waitcnt lgkmcnt(0)
	s_barrier
	buffer_gl0_inv
	v_mov_b32_dpp v13, v12 row_shr:1 row_mask:0xf bank_mask:0xf bound_ctrl:1
	s_delay_alu instid0(VALU_DEP_1) | instskip(NEXT) | instid1(VALU_DEP_1)
	v_add_co_ci_u32_e64 v14, s10, 0, v13, s9
	v_mov_b32_dpp v14, v14 row_shr:2 row_mask:0xf bank_mask:0xf bound_ctrl:1
	s_delay_alu instid0(VALU_DEP_1) | instskip(NEXT) | instid1(VALU_DEP_1)
	v_add_co_ci_u32_e64 v13, s10, v14, v13, s9
	v_add_nc_u32_dpp v13, v13, v13 row_shr:4 row_mask:0xf bank_mask:0xf bound_ctrl:1
	s_delay_alu instid0(VALU_DEP_1) | instskip(SKIP_3) | instid1(VALU_DEP_1)
	v_add_nc_u32_dpp v13, v13, v13 row_shr:8 row_mask:0xf bank_mask:0xf bound_ctrl:1
	ds_bpermute_b32 v14, v9, v13
	s_waitcnt lgkmcnt(0)
	v_cndmask_b32_e64 v14, 0, v14, s4
	v_add_nc_u32_e32 v13, v13, v14
	s_and_saveexec_b32 s10, vcc_lo
	s_cbranch_execz .LBB54_40
; %bb.39:                               ;   in Loop: Header=BB54_36 Depth=1
	ds_store_b32 v8, v13 offset:16
.LBB54_40:                              ;   in Loop: Header=BB54_36 Depth=1
	s_or_b32 exec_lo, exec_lo, s10
	s_waitcnt lgkmcnt(0)
	s_barrier
	buffer_gl0_inv
	ds_load_2addr_b32 v[14:15], v10 offset0:4 offset1:5
	ds_load_2addr_b32 v[16:17], v10 offset0:6 offset1:7
	;; [unrolled: 1-line block ×3, first 2 shown]
	ds_load_b32 v20, v10 offset:40
	s_waitcnt lgkmcnt(3)
	v_cndmask_b32_e64 v14, v14, 0, s0
	v_cndmask_b32_e64 v15, 0, v15, s1
	s_waitcnt lgkmcnt(2)
	v_cndmask_b32_e64 v16, 0, v16, s2
	s_delay_alu instid0(VALU_DEP_3) | instskip(SKIP_3) | instid1(VALU_DEP_3)
	v_add3_u32 v11, v13, v11, v14
	v_cndmask_b32_e64 v13, 0, v17, s3
	s_waitcnt lgkmcnt(1)
	v_cndmask_b32_e64 v14, 0, v18, s5
	v_add3_u32 v11, v11, v15, v16
	v_cndmask_b32_e64 v15, 0, v19, s6
	s_waitcnt lgkmcnt(0)
	v_cndmask_b32_e64 v16, 0, v20, s7
	s_delay_alu instid0(VALU_DEP_3) | instskip(NEXT) | instid1(VALU_DEP_1)
	v_add3_u32 v11, v11, v13, v14
	v_add3_u32 v13, v11, v15, v16
	s_and_saveexec_b32 s10, s8
	s_cbranch_execz .LBB54_42
; %bb.41:                               ;   in Loop: Header=BB54_36 Depth=1
	ds_store_b32 v10, v13
.LBB54_42:                              ;   in Loop: Header=BB54_36 Depth=1
	s_or_b32 exec_lo, exec_lo, s10
	s_waitcnt lgkmcnt(0)
	s_barrier
	buffer_gl0_inv
	ds_load_b32 v11, v10
	s_and_saveexec_b32 s10, s9
	s_cbranch_execz .LBB54_35
; %bb.43:                               ;   in Loop: Header=BB54_36 Depth=1
	v_add_nc_u32_e32 v4, v4, v3
	v_sub_nc_u32_e32 v12, v1, v12
	v_perm_b32 v7, v7, v6, 0x4020100
	s_delay_alu instid0(VALU_DEP_3) | instskip(NEXT) | instid1(VALU_DEP_3)
	v_lshlrev_b64 v[14:15], 2, v[4:5]
	v_add_nc_u32_e32 v12, v12, v13
	s_delay_alu instid0(VALU_DEP_1) | instskip(NEXT) | instid1(VALU_DEP_3)
	v_ashrrev_i32_e32 v13, 31, v12
	v_add_co_u32 v14, s9, s46, v14
	s_delay_alu instid0(VALU_DEP_1) | instskip(NEXT) | instid1(VALU_DEP_3)
	v_add_co_ci_u32_e64 v15, s9, s47, v15, s9
	v_lshlrev_b64 v[12:13], 2, v[12:13]
	global_load_b32 v4, v[14:15], off
	v_add_co_u32 v14, s9, s24, v12
	s_delay_alu instid0(VALU_DEP_1) | instskip(SKIP_1) | instid1(VALU_DEP_1)
	v_add_co_ci_u32_e64 v15, s9, s25, v13, s9
	v_add_co_u32 v12, s9, s26, v12
	v_add_co_ci_u32_e64 v13, s9, s27, v13, s9
	global_store_b32 v[14:15], v7, off
	s_waitcnt vmcnt(0)
	global_store_b32 v[12:13], v4, off
	s_branch .LBB54_35
.LBB54_44:
	v_mov_b32_e32 v11, 0
.LBB54_45:
	s_waitcnt lgkmcnt(0)
	s_delay_alu instid0(VALU_DEP_1) | instskip(SKIP_1) | instid1(VALU_DEP_1)
	v_add3_u32 v0, v11, v1, v0
	s_mov_b32 s0, exec_lo
	v_cmpx_lt_i32_e64 v0, v2
	s_cbranch_execz .LBB54_48
; %bb.46:
	v_ashrrev_i32_e32 v1, 31, v0
	s_and_b32 s0, s36, 0xffffff
	s_lshl_b32 s1, s42, 24
	v_mov_b32_e32 v7, 0
	s_or_b32 s0, s1, s0
	v_lshlrev_b64 v[5:6], 2, v[0:1]
	v_mov_b32_e32 v1, s0
	s_mov_b32 s1, 0
	s_delay_alu instid0(VALU_DEP_2) | instskip(NEXT) | instid1(VALU_DEP_3)
	v_add_co_u32 v3, vcc_lo, s24, v5
	v_add_co_ci_u32_e32 v4, vcc_lo, s25, v6, vcc_lo
	v_add_co_u32 v5, vcc_lo, s26, v5
	v_add_co_ci_u32_e32 v6, vcc_lo, s27, v6, vcc_lo
	.p2align	6
.LBB54_47:                              ; =>This Inner Loop Header: Depth=1
	v_add_nc_u32_e32 v0, 0x100, v0
	global_store_b32 v[3:4], v1, off
	global_store_b32 v[5:6], v7, off
	v_add_co_u32 v3, vcc_lo, 0x400, v3
	v_add_co_ci_u32_e32 v4, vcc_lo, 0, v4, vcc_lo
	v_cmp_ge_i32_e32 vcc_lo, v0, v2
	v_add_co_u32 v5, s0, 0x400, v5
	s_delay_alu instid0(VALU_DEP_1) | instskip(SKIP_1) | instid1(SALU_CYCLE_1)
	v_add_co_ci_u32_e64 v6, s0, 0, v6, s0
	s_or_b32 s1, vcc_lo, s1
	s_and_not1_b32 exec_lo, exec_lo, s1
	s_cbranch_execnz .LBB54_47
.LBB54_48:
	s_nop 0
	s_sendmsg sendmsg(MSG_DEALLOC_VGPRS)
	s_endpgm
	.section	.rodata,"a",@progbits
	.p2align	6, 0x0
	.amdhsa_kernel _ZN5aiter22opus_moe_sorting_entryINS_30MoeSortingMultiPhaseKernel_P23INS_19MoeSortingProblemMpIifiLi1ELb0ELb0ELb1EEEEENS4_5KargsEEEvT0_
		.amdhsa_group_segment_fixed_size 0
		.amdhsa_private_segment_fixed_size 0
		.amdhsa_kernarg_size 400
		.amdhsa_user_sgpr_count 15
		.amdhsa_user_sgpr_dispatch_ptr 0
		.amdhsa_user_sgpr_queue_ptr 0
		.amdhsa_user_sgpr_kernarg_segment_ptr 1
		.amdhsa_user_sgpr_dispatch_id 0
		.amdhsa_user_sgpr_private_segment_size 0
		.amdhsa_wavefront_size32 1
		.amdhsa_uses_dynamic_stack 0
		.amdhsa_enable_private_segment 0
		.amdhsa_system_sgpr_workgroup_id_x 1
		.amdhsa_system_sgpr_workgroup_id_y 0
		.amdhsa_system_sgpr_workgroup_id_z 0
		.amdhsa_system_sgpr_workgroup_info 0
		.amdhsa_system_vgpr_workitem_id 0
		.amdhsa_next_free_vgpr 32
		.amdhsa_next_free_sgpr 48
		.amdhsa_reserve_vcc 1
		.amdhsa_float_round_mode_32 0
		.amdhsa_float_round_mode_16_64 0
		.amdhsa_float_denorm_mode_32 3
		.amdhsa_float_denorm_mode_16_64 3
		.amdhsa_dx10_clamp 1
		.amdhsa_ieee_mode 1
		.amdhsa_fp16_overflow 0
		.amdhsa_workgroup_processor_mode 1
		.amdhsa_memory_ordered 1
		.amdhsa_forward_progress 0
		.amdhsa_shared_vgpr_count 0
		.amdhsa_exception_fp_ieee_invalid_op 0
		.amdhsa_exception_fp_denorm_src 0
		.amdhsa_exception_fp_ieee_div_zero 0
		.amdhsa_exception_fp_ieee_overflow 0
		.amdhsa_exception_fp_ieee_underflow 0
		.amdhsa_exception_fp_ieee_inexact 0
		.amdhsa_exception_int_div_zero 0
	.end_amdhsa_kernel
	.section	.text._ZN5aiter22opus_moe_sorting_entryINS_30MoeSortingMultiPhaseKernel_P23INS_19MoeSortingProblemMpIifiLi1ELb0ELb0ELb1EEEEENS4_5KargsEEEvT0_,"axG",@progbits,_ZN5aiter22opus_moe_sorting_entryINS_30MoeSortingMultiPhaseKernel_P23INS_19MoeSortingProblemMpIifiLi1ELb0ELb0ELb1EEEEENS4_5KargsEEEvT0_,comdat
.Lfunc_end54:
	.size	_ZN5aiter22opus_moe_sorting_entryINS_30MoeSortingMultiPhaseKernel_P23INS_19MoeSortingProblemMpIifiLi1ELb0ELb0ELb1EEEEENS4_5KargsEEEvT0_, .Lfunc_end54-_ZN5aiter22opus_moe_sorting_entryINS_30MoeSortingMultiPhaseKernel_P23INS_19MoeSortingProblemMpIifiLi1ELb0ELb0ELb1EEEEENS4_5KargsEEEvT0_
                                        ; -- End function
	.section	.AMDGPU.csdata,"",@progbits
; Kernel info:
; codeLenInByte = 2712
; NumSgprs: 50
; NumVgprs: 32
; ScratchSize: 0
; MemoryBound: 0
; FloatMode: 240
; IeeeMode: 1
; LDSByteSize: 0 bytes/workgroup (compile time only)
; SGPRBlocks: 6
; VGPRBlocks: 3
; NumSGPRsForWavesPerEU: 50
; NumVGPRsForWavesPerEU: 32
; Occupancy: 16
; WaveLimiterHint : 0
; COMPUTE_PGM_RSRC2:SCRATCH_EN: 0
; COMPUTE_PGM_RSRC2:USER_SGPR: 15
; COMPUTE_PGM_RSRC2:TRAP_HANDLER: 0
; COMPUTE_PGM_RSRC2:TGID_X_EN: 1
; COMPUTE_PGM_RSRC2:TGID_Y_EN: 0
; COMPUTE_PGM_RSRC2:TGID_Z_EN: 0
; COMPUTE_PGM_RSRC2:TIDIG_COMP_CNT: 0
	.section	.text._ZN5aiter22opus_moe_sorting_entryINS_32MoeSortingMultiPhaseKernel_P0_v1INS_19MoeSortingProblemMpIifhLi4ELb1ELb1ELb1EEEEENS4_5KargsEEEvT0_,"axG",@progbits,_ZN5aiter22opus_moe_sorting_entryINS_32MoeSortingMultiPhaseKernel_P0_v1INS_19MoeSortingProblemMpIifhLi4ELb1ELb1ELb1EEEEENS4_5KargsEEEvT0_,comdat
	.protected	_ZN5aiter22opus_moe_sorting_entryINS_32MoeSortingMultiPhaseKernel_P0_v1INS_19MoeSortingProblemMpIifhLi4ELb1ELb1ELb1EEEEENS4_5KargsEEEvT0_ ; -- Begin function _ZN5aiter22opus_moe_sorting_entryINS_32MoeSortingMultiPhaseKernel_P0_v1INS_19MoeSortingProblemMpIifhLi4ELb1ELb1ELb1EEEEENS4_5KargsEEEvT0_
	.globl	_ZN5aiter22opus_moe_sorting_entryINS_32MoeSortingMultiPhaseKernel_P0_v1INS_19MoeSortingProblemMpIifhLi4ELb1ELb1ELb1EEEEENS4_5KargsEEEvT0_
	.p2align	8
	.type	_ZN5aiter22opus_moe_sorting_entryINS_32MoeSortingMultiPhaseKernel_P0_v1INS_19MoeSortingProblemMpIifhLi4ELb1ELb1ELb1EEEEENS4_5KargsEEEvT0_,@function
_ZN5aiter22opus_moe_sorting_entryINS_32MoeSortingMultiPhaseKernel_P0_v1INS_19MoeSortingProblemMpIifhLi4ELb1ELb1ELb1EEEEENS4_5KargsEEEvT0_: ; @_ZN5aiter22opus_moe_sorting_entryINS_32MoeSortingMultiPhaseKernel_P0_v1INS_19MoeSortingProblemMpIifhLi4ELb1ELb1ELb1EEEEENS4_5KargsEEEvT0_
; %bb.0:
	s_clause 0x1
	s_load_b128 s[4:7], s[0:1], 0x0
	s_load_b32 s11, s[0:1], 0x24
	s_lshl_b32 s21, s15, 8
	s_delay_alu instid0(SALU_CYCLE_1) | instskip(SKIP_4) | instid1(SALU_CYCLE_1)
	v_add_nc_u32_e32 v4, s21, v0
	s_waitcnt lgkmcnt(0)
	s_load_b32 s8, s[6:7], 0x0
	s_waitcnt lgkmcnt(0)
	s_add_i32 s2, s8, 3
	s_ashr_i32 s3, s2, 31
	s_delay_alu instid0(SALU_CYCLE_1) | instskip(NEXT) | instid1(SALU_CYCLE_1)
	s_lshr_b32 s3, s3, 30
	s_add_i32 s2, s2, s3
	s_delay_alu instid0(SALU_CYCLE_1) | instskip(NEXT) | instid1(SALU_CYCLE_1)
	s_lshr_b32 s2, s2, 2
	s_mul_i32 s9, s11, s2
	s_mov_b32 s2, exec_lo
	s_and_not1_b32 s9, s9, -2.0
	s_delay_alu instid0(SALU_CYCLE_1)
	v_cmpx_gt_i32_e64 s9, v4
	s_cbranch_execz .LBB55_41
; %bb.1:
	s_clause 0x3
	s_load_b32 s25, s[0:1], 0x30
	s_load_b64 s[2:3], s[0:1], 0x10
	s_load_b32 s10, s[0:1], 0x1c
	s_load_b64 s[6:7], s[0:1], 0x28
	v_lshlrev_b32_e32 v1, 2, v0
	s_lshl_b32 s26, s15, 10
	s_add_i32 s0, s8, 31
	s_mov_b32 s1, 0
	s_ashr_i32 s12, s0, 31
	v_add_nc_u32_e32 v7, s26, v1
	s_lshr_b32 s12, s12, 27
	s_sub_i32 s11, 0, s11
	s_add_i32 s12, s0, s12
	s_mov_b32 s30, 0
	v_or_b32_e32 v23, 2, v7
	s_and_not1_b32 s12, s12, 31
	s_delay_alu instid0(VALU_DEP_1)
	v_mov_b32_e32 v28, v23
	s_waitcnt lgkmcnt(0)
	s_mul_i32 s16, s25, 0x300
	s_lshl_b32 s18, s25, 9
	s_add_i32 s0, s21, s16
	s_lshl_b32 s13, s25, 8
	v_add_lshl_u32 v9, s0, v0, 2
	s_add_i32 s0, s21, s18
	v_add_lshl_u32 v17, v4, s13, 2
	v_add_lshl_u32 v10, s0, v0, 2
	v_or_b32_e32 v22, 1, v7
	v_or_b32_e32 v24, 3, v7
	s_mul_i32 s14, s25, 0xc00
	s_lshl_b32 s15, s25, 12
	s_lshl_b32 s17, s25, 11
	;; [unrolled: 1-line block ×3, first 2 shown]
	v_or_b32_e32 v11, 3, v9
	v_or_b32_e32 v12, 2, v9
	v_or_b32_e32 v13, 1, v9
	v_or_b32_e32 v15, 3, v10
	v_or_b32_e32 v16, 2, v10
	v_or_b32_e32 v18, 1, v10
	v_or_b32_e32 v20, 3, v17
	v_or_b32_e32 v21, 2, v17
	v_or_b32_e32 v25, 1, v17
	v_mov_b32_e32 v26, v7
	v_add3_u32 v8, s14, s26, v1
	v_add3_u32 v14, s17, s26, v1
	;; [unrolled: 1-line block ×3, first 2 shown]
	v_mov_b32_e32 v27, v22
	v_mov_b32_e32 v29, v24
	s_or_b32 s19, s14, 3
	s_or_b32 s20, s14, 2
	s_or_b32 s21, s14, 1
	s_or_b32 s22, s17, 3
	s_or_b32 s23, s17, 2
	s_or_b32 s24, s17, 1
	s_or_b32 s26, s25, 3
	s_or_b32 s27, s25, 2
	s_or_b32 s28, s25, 1
	s_add_i32 s29, s13, s13
	s_branch .LBB55_6
.LBB55_2:                               ;   in Loop: Header=BB55_6 Depth=1
	s_or_b32 exec_lo, exec_lo, s0
	v_add3_u32 v4, s29, s13, v5
	v_add_nc_u32_e32 v11, s15, v11
	v_add_nc_u32_e32 v12, s15, v12
	;; [unrolled: 1-line block ×4, first 2 shown]
	v_cmp_le_i32_e32 vcc_lo, s9, v4
	v_add_nc_u32_e32 v15, s15, v15
	v_add_nc_u32_e32 v16, s15, v16
	;; [unrolled: 1-line block ×12, first 2 shown]
	s_add_i32 s30, s30, s15
	s_or_not1_b32 s0, vcc_lo, exec_lo
.LBB55_3:                               ;   in Loop: Header=BB55_6 Depth=1
	s_or_b32 exec_lo, exec_lo, s34
	s_delay_alu instid0(SALU_CYCLE_1)
	s_or_not1_b32 s0, s0, exec_lo
.LBB55_4:                               ;   in Loop: Header=BB55_6 Depth=1
	s_or_b32 exec_lo, exec_lo, s33
	s_delay_alu instid0(SALU_CYCLE_1)
	s_or_not1_b32 s0, s0, exec_lo
.LBB55_5:                               ;   in Loop: Header=BB55_6 Depth=1
	s_or_b32 exec_lo, exec_lo, s31
	s_delay_alu instid0(SALU_CYCLE_1) | instskip(NEXT) | instid1(SALU_CYCLE_1)
	s_and_b32 s0, exec_lo, s0
	s_or_b32 s1, s0, s1
	s_delay_alu instid0(SALU_CYCLE_1)
	s_and_not1_b32 exec_lo, exec_lo, s1
	s_cbranch_execz .LBB55_41
.LBB55_6:                               ; =>This Inner Loop Header: Depth=1
	v_ashrrev_i32_e32 v5, 31, v4
	s_delay_alu instid0(VALU_DEP_1) | instskip(SKIP_1) | instid1(VALU_DEP_2)
	v_lshlrev_b64 v[0:1], 4, v[4:5]
	v_mul_hi_u32 v5, s6, v26
	v_add_co_u32 v0, vcc_lo, s4, v0
	s_delay_alu instid0(VALU_DEP_3) | instskip(NEXT) | instid1(VALU_DEP_3)
	v_add_co_ci_u32_e32 v1, vcc_lo, s5, v1, vcc_lo
	v_add3_u32 v5, v7, v5, s30
	global_load_b128 v[0:3], v[0:1], off
	v_lshrrev_b32_e32 v5, s7, v5
	s_delay_alu instid0(VALU_DEP_1) | instskip(SKIP_2) | instid1(VALU_DEP_2)
	v_cmp_gt_i32_e64 s0, s8, v5
	s_waitcnt vmcnt(0)
	v_cmp_gt_i32_e32 vcc_lo, s10, v0
	s_and_b32 s31, vcc_lo, s0
	s_delay_alu instid0(SALU_CYCLE_1)
	s_and_saveexec_b32 s0, s31
	s_cbranch_execz .LBB55_8
; %bb.7:                                ;   in Loop: Header=BB55_6 Depth=1
	v_mul_lo_u32 v6, s11, v5
	s_delay_alu instid0(VALU_DEP_1) | instskip(NEXT) | instid1(VALU_DEP_1)
	v_add3_u32 v6, v7, s30, v6
	v_mad_u64_u32 v[30:31], null, v0, s12, v[5:6]
	v_add_nc_u16 v0, v6, 1
	global_store_b8 v30, v0, s[2:3]
.LBB55_8:                               ;   in Loop: Header=BB55_6 Depth=1
	s_or_b32 exec_lo, exec_lo, s0
	v_mul_hi_u32 v0, s6, v27
	v_cmp_gt_i32_e32 vcc_lo, s10, v1
	s_delay_alu instid0(VALU_DEP_2) | instskip(NEXT) | instid1(VALU_DEP_1)
	v_add3_u32 v0, v22, v0, s30
	v_lshrrev_b32_e32 v0, s7, v0
	s_delay_alu instid0(VALU_DEP_1) | instskip(NEXT) | instid1(VALU_DEP_1)
	v_cmp_gt_i32_e64 s0, s8, v0
	s_and_b32 s31, vcc_lo, s0
	s_delay_alu instid0(SALU_CYCLE_1)
	s_and_saveexec_b32 s0, s31
	s_cbranch_execz .LBB55_10
; %bb.9:                                ;   in Loop: Header=BB55_6 Depth=1
	v_mul_lo_u32 v5, s11, v0
	s_delay_alu instid0(VALU_DEP_1) | instskip(SKIP_1) | instid1(VALU_DEP_2)
	v_add3_u32 v30, v7, s30, v5
	v_mad_u64_u32 v[5:6], null, v1, s12, v[0:1]
	v_add_nc_u16 v0, v30, 2
	global_store_b8 v5, v0, s[2:3]
.LBB55_10:                              ;   in Loop: Header=BB55_6 Depth=1
	s_or_b32 exec_lo, exec_lo, s0
	v_mul_hi_u32 v0, s6, v28
	v_cmp_gt_i32_e32 vcc_lo, s10, v2
	s_delay_alu instid0(VALU_DEP_2) | instskip(NEXT) | instid1(VALU_DEP_1)
	v_add3_u32 v0, v23, v0, s30
	v_lshrrev_b32_e32 v0, s7, v0
	s_delay_alu instid0(VALU_DEP_1) | instskip(NEXT) | instid1(VALU_DEP_1)
	v_cmp_gt_i32_e64 s0, s8, v0
	s_and_b32 s31, vcc_lo, s0
	s_delay_alu instid0(SALU_CYCLE_1)
	s_and_saveexec_b32 s0, s31
	s_cbranch_execz .LBB55_12
; %bb.11:                               ;   in Loop: Header=BB55_6 Depth=1
	v_mul_lo_u32 v1, s11, v0
	s_delay_alu instid0(VALU_DEP_1) | instskip(NEXT) | instid1(VALU_DEP_1)
	v_add3_u32 v1, v7, s30, v1
	v_mad_u64_u32 v[5:6], null, v2, s12, v[0:1]
	v_add_nc_u16 v0, v1, 3
	global_store_b8 v5, v0, s[2:3]
.LBB55_12:                              ;   in Loop: Header=BB55_6 Depth=1
	s_or_b32 exec_lo, exec_lo, s0
	v_mul_hi_u32 v0, s6, v29
	v_cmp_gt_i32_e32 vcc_lo, s10, v3
	s_delay_alu instid0(VALU_DEP_2) | instskip(NEXT) | instid1(VALU_DEP_1)
	v_add3_u32 v0, v24, v0, s30
	v_lshrrev_b32_e32 v0, s7, v0
	s_delay_alu instid0(VALU_DEP_1) | instskip(NEXT) | instid1(VALU_DEP_1)
	v_cmp_gt_i32_e64 s0, s8, v0
	s_and_b32 s31, vcc_lo, s0
	s_delay_alu instid0(SALU_CYCLE_1)
	s_and_saveexec_b32 s0, s31
	s_cbranch_execz .LBB55_14
; %bb.13:                               ;   in Loop: Header=BB55_6 Depth=1
	v_mul_lo_u32 v1, s11, v0
	s_delay_alu instid0(VALU_DEP_1) | instskip(SKIP_1) | instid1(VALU_DEP_2)
	v_add3_u32 v5, v7, s30, v1
	v_mad_u64_u32 v[1:2], null, v3, s12, v[0:1]
	v_add_nc_u16 v0, v5, 4
	global_store_b8 v1, v0, s[2:3]
.LBB55_14:                              ;   in Loop: Header=BB55_6 Depth=1
	s_or_b32 exec_lo, exec_lo, s0
	v_add_nc_u32_e32 v5, s13, v4
	s_mov_b32 s0, -1
	s_mov_b32 s31, exec_lo
	s_delay_alu instid0(VALU_DEP_1)
	v_cmpx_gt_i32_e64 s9, v5
	s_cbranch_execz .LBB55_5
; %bb.15:                               ;   in Loop: Header=BB55_6 Depth=1
	v_ashrrev_i32_e32 v6, 31, v5
	v_add_nc_u32_e32 v30, s30, v7
	s_delay_alu instid0(VALU_DEP_2) | instskip(SKIP_1) | instid1(VALU_DEP_2)
	v_lshlrev_b64 v[0:1], 4, v[5:6]
	v_mul_hi_u32 v6, s6, v17
	v_add_co_u32 v0, vcc_lo, s4, v0
	s_delay_alu instid0(VALU_DEP_3) | instskip(NEXT) | instid1(VALU_DEP_3)
	v_add_co_ci_u32_e32 v1, vcc_lo, s5, v1, vcc_lo
	v_add3_u32 v6, s25, v6, v30
	global_load_b128 v[0:3], v[0:1], off
	v_lshrrev_b32_e32 v6, s7, v6
	s_delay_alu instid0(VALU_DEP_1) | instskip(SKIP_2) | instid1(VALU_DEP_2)
	v_cmp_gt_i32_e64 s0, s8, v6
	s_waitcnt vmcnt(0)
	v_cmp_gt_i32_e32 vcc_lo, s10, v0
	s_and_b32 s33, vcc_lo, s0
	s_delay_alu instid0(SALU_CYCLE_1)
	s_and_saveexec_b32 s0, s33
	s_cbranch_execz .LBB55_17
; %bb.16:                               ;   in Loop: Header=BB55_6 Depth=1
	v_mul_lo_u32 v31, s11, v6
	s_delay_alu instid0(VALU_DEP_1) | instskip(SKIP_1) | instid1(VALU_DEP_2)
	v_add3_u32 v33, v19, s30, v31
	v_mad_u64_u32 v[31:32], null, v0, s12, v[6:7]
	v_add_nc_u16 v0, v33, 1
	global_store_b8 v31, v0, s[2:3]
.LBB55_17:                              ;   in Loop: Header=BB55_6 Depth=1
	s_or_b32 exec_lo, exec_lo, s0
	v_mul_hi_u32 v0, s6, v25
	v_cmp_gt_i32_e32 vcc_lo, s10, v1
	s_delay_alu instid0(VALU_DEP_2) | instskip(NEXT) | instid1(VALU_DEP_1)
	v_add3_u32 v0, s28, v0, v30
	v_lshrrev_b32_e32 v0, s7, v0
	s_delay_alu instid0(VALU_DEP_1) | instskip(NEXT) | instid1(VALU_DEP_1)
	v_cmp_gt_i32_e64 s0, s8, v0
	s_and_b32 s33, vcc_lo, s0
	s_delay_alu instid0(SALU_CYCLE_1)
	s_and_saveexec_b32 s0, s33
	s_cbranch_execz .LBB55_19
; %bb.18:                               ;   in Loop: Header=BB55_6 Depth=1
	v_mul_lo_u32 v6, s11, v0
	v_mad_u64_u32 v[31:32], null, v1, s12, v[0:1]
	s_delay_alu instid0(VALU_DEP_2) | instskip(NEXT) | instid1(VALU_DEP_1)
	v_add3_u32 v6, v19, s30, v6
	v_add_nc_u16 v0, v6, 2
	global_store_b8 v31, v0, s[2:3]
.LBB55_19:                              ;   in Loop: Header=BB55_6 Depth=1
	s_or_b32 exec_lo, exec_lo, s0
	v_mul_hi_u32 v0, s6, v21
	v_cmp_gt_i32_e32 vcc_lo, s10, v2
	s_delay_alu instid0(VALU_DEP_2) | instskip(NEXT) | instid1(VALU_DEP_1)
	v_add3_u32 v0, s27, v0, v30
	v_lshrrev_b32_e32 v0, s7, v0
	s_delay_alu instid0(VALU_DEP_1) | instskip(NEXT) | instid1(VALU_DEP_1)
	v_cmp_gt_i32_e64 s0, s8, v0
	s_and_b32 s33, vcc_lo, s0
	s_delay_alu instid0(SALU_CYCLE_1)
	s_and_saveexec_b32 s0, s33
	s_cbranch_execz .LBB55_21
; %bb.20:                               ;   in Loop: Header=BB55_6 Depth=1
	v_mul_lo_u32 v1, s11, v0
	s_delay_alu instid0(VALU_DEP_1) | instskip(NEXT) | instid1(VALU_DEP_1)
	v_add3_u32 v1, v19, s30, v1
	v_mad_u64_u32 v[31:32], null, v2, s12, v[0:1]
	v_add_nc_u16 v0, v1, 3
	global_store_b8 v31, v0, s[2:3]
.LBB55_21:                              ;   in Loop: Header=BB55_6 Depth=1
	s_or_b32 exec_lo, exec_lo, s0
	v_mul_hi_u32 v0, s6, v20
	v_cmp_gt_i32_e32 vcc_lo, s10, v3
	s_delay_alu instid0(VALU_DEP_2) | instskip(NEXT) | instid1(VALU_DEP_1)
	v_add3_u32 v0, s26, v0, v30
	v_lshrrev_b32_e32 v0, s7, v0
	s_delay_alu instid0(VALU_DEP_1) | instskip(NEXT) | instid1(VALU_DEP_1)
	v_cmp_gt_i32_e64 s0, s8, v0
	s_and_b32 s33, vcc_lo, s0
	s_delay_alu instid0(SALU_CYCLE_1)
	s_and_saveexec_b32 s0, s33
	s_cbranch_execz .LBB55_23
; %bb.22:                               ;   in Loop: Header=BB55_6 Depth=1
	v_mul_lo_u32 v1, s11, v0
	s_delay_alu instid0(VALU_DEP_1) | instskip(SKIP_1) | instid1(VALU_DEP_2)
	v_add3_u32 v6, v19, s30, v1
	v_mad_u64_u32 v[1:2], null, v3, s12, v[0:1]
	v_add_nc_u16 v0, v6, 4
	global_store_b8 v1, v0, s[2:3]
.LBB55_23:                              ;   in Loop: Header=BB55_6 Depth=1
	s_or_b32 exec_lo, exec_lo, s0
	v_add_nc_u32_e32 v0, s18, v4
	s_mov_b32 s0, -1
	s_mov_b32 s33, exec_lo
	s_delay_alu instid0(VALU_DEP_1)
	v_cmpx_gt_i32_e64 s9, v0
	s_cbranch_execz .LBB55_4
; %bb.24:                               ;   in Loop: Header=BB55_6 Depth=1
	v_ashrrev_i32_e32 v1, 31, v0
	v_mul_hi_u32 v6, s6, v10
	s_delay_alu instid0(VALU_DEP_2) | instskip(NEXT) | instid1(VALU_DEP_2)
	v_lshlrev_b64 v[0:1], 4, v[0:1]
	v_add3_u32 v6, s17, v6, v30
	s_delay_alu instid0(VALU_DEP_2) | instskip(NEXT) | instid1(VALU_DEP_3)
	v_add_co_u32 v0, vcc_lo, s4, v0
	v_add_co_ci_u32_e32 v1, vcc_lo, s5, v1, vcc_lo
	s_delay_alu instid0(VALU_DEP_3) | instskip(SKIP_4) | instid1(VALU_DEP_2)
	v_lshrrev_b32_e32 v6, s7, v6
	global_load_b128 v[0:3], v[0:1], off
	v_cmp_gt_i32_e64 s0, s8, v6
	s_waitcnt vmcnt(0)
	v_cmp_gt_i32_e32 vcc_lo, s10, v0
	s_and_b32 s34, vcc_lo, s0
	s_delay_alu instid0(SALU_CYCLE_1)
	s_and_saveexec_b32 s0, s34
	s_cbranch_execz .LBB55_26
; %bb.25:                               ;   in Loop: Header=BB55_6 Depth=1
	v_mul_lo_u32 v31, s11, v6
	s_delay_alu instid0(VALU_DEP_1) | instskip(SKIP_1) | instid1(VALU_DEP_2)
	v_add3_u32 v33, v14, s30, v31
	v_mad_u64_u32 v[31:32], null, v0, s12, v[6:7]
	v_add_nc_u16 v0, v33, 1
	global_store_b8 v31, v0, s[2:3]
.LBB55_26:                              ;   in Loop: Header=BB55_6 Depth=1
	s_or_b32 exec_lo, exec_lo, s0
	v_mul_hi_u32 v0, s6, v18
	v_cmp_gt_i32_e32 vcc_lo, s10, v1
	s_delay_alu instid0(VALU_DEP_2) | instskip(NEXT) | instid1(VALU_DEP_1)
	v_add3_u32 v0, s24, v0, v30
	v_lshrrev_b32_e32 v0, s7, v0
	s_delay_alu instid0(VALU_DEP_1) | instskip(NEXT) | instid1(VALU_DEP_1)
	v_cmp_gt_i32_e64 s0, s8, v0
	s_and_b32 s34, vcc_lo, s0
	s_delay_alu instid0(SALU_CYCLE_1)
	s_and_saveexec_b32 s0, s34
	s_cbranch_execz .LBB55_28
; %bb.27:                               ;   in Loop: Header=BB55_6 Depth=1
	v_mul_lo_u32 v6, s11, v0
	v_mad_u64_u32 v[31:32], null, v1, s12, v[0:1]
	s_delay_alu instid0(VALU_DEP_2) | instskip(NEXT) | instid1(VALU_DEP_1)
	v_add3_u32 v6, v14, s30, v6
	v_add_nc_u16 v0, v6, 2
	global_store_b8 v31, v0, s[2:3]
.LBB55_28:                              ;   in Loop: Header=BB55_6 Depth=1
	s_or_b32 exec_lo, exec_lo, s0
	v_mul_hi_u32 v0, s6, v16
	v_cmp_gt_i32_e32 vcc_lo, s10, v2
	s_delay_alu instid0(VALU_DEP_2) | instskip(NEXT) | instid1(VALU_DEP_1)
	v_add3_u32 v0, s23, v0, v30
	v_lshrrev_b32_e32 v0, s7, v0
	s_delay_alu instid0(VALU_DEP_1) | instskip(NEXT) | instid1(VALU_DEP_1)
	v_cmp_gt_i32_e64 s0, s8, v0
	s_and_b32 s34, vcc_lo, s0
	s_delay_alu instid0(SALU_CYCLE_1)
	s_and_saveexec_b32 s0, s34
	s_cbranch_execz .LBB55_30
; %bb.29:                               ;   in Loop: Header=BB55_6 Depth=1
	v_mul_lo_u32 v1, s11, v0
	s_delay_alu instid0(VALU_DEP_1) | instskip(NEXT) | instid1(VALU_DEP_1)
	v_add3_u32 v1, v14, s30, v1
	v_mad_u64_u32 v[31:32], null, v2, s12, v[0:1]
	v_add_nc_u16 v0, v1, 3
	global_store_b8 v31, v0, s[2:3]
.LBB55_30:                              ;   in Loop: Header=BB55_6 Depth=1
	s_or_b32 exec_lo, exec_lo, s0
	v_mul_hi_u32 v0, s6, v15
	v_cmp_gt_i32_e32 vcc_lo, s10, v3
	s_delay_alu instid0(VALU_DEP_2) | instskip(NEXT) | instid1(VALU_DEP_1)
	v_add3_u32 v0, s22, v0, v30
	v_lshrrev_b32_e32 v0, s7, v0
	s_delay_alu instid0(VALU_DEP_1) | instskip(NEXT) | instid1(VALU_DEP_1)
	v_cmp_gt_i32_e64 s0, s8, v0
	s_and_b32 s34, vcc_lo, s0
	s_delay_alu instid0(SALU_CYCLE_1)
	s_and_saveexec_b32 s0, s34
	s_cbranch_execz .LBB55_32
; %bb.31:                               ;   in Loop: Header=BB55_6 Depth=1
	v_mul_lo_u32 v1, s11, v0
	s_delay_alu instid0(VALU_DEP_1) | instskip(SKIP_1) | instid1(VALU_DEP_2)
	v_add3_u32 v6, v14, s30, v1
	v_mad_u64_u32 v[1:2], null, v3, s12, v[0:1]
	v_add_nc_u16 v0, v6, 4
	global_store_b8 v1, v0, s[2:3]
.LBB55_32:                              ;   in Loop: Header=BB55_6 Depth=1
	s_or_b32 exec_lo, exec_lo, s0
	v_add_nc_u32_e32 v0, s16, v4
	s_mov_b32 s0, -1
	s_mov_b32 s34, exec_lo
                                        ; implicit-def: $vgpr4
	s_delay_alu instid0(VALU_DEP_1)
	v_cmpx_gt_i32_e64 s9, v0
	s_cbranch_execz .LBB55_3
; %bb.33:                               ;   in Loop: Header=BB55_6 Depth=1
	v_ashrrev_i32_e32 v1, 31, v0
	v_mul_hi_u32 v4, s6, v9
	s_delay_alu instid0(VALU_DEP_2) | instskip(NEXT) | instid1(VALU_DEP_2)
	v_lshlrev_b64 v[0:1], 4, v[0:1]
	v_add3_u32 v4, s14, v4, v30
	s_delay_alu instid0(VALU_DEP_2) | instskip(NEXT) | instid1(VALU_DEP_3)
	v_add_co_u32 v0, vcc_lo, s4, v0
	v_add_co_ci_u32_e32 v1, vcc_lo, s5, v1, vcc_lo
	s_delay_alu instid0(VALU_DEP_3) | instskip(SKIP_4) | instid1(VALU_DEP_2)
	v_lshrrev_b32_e32 v4, s7, v4
	global_load_b128 v[0:3], v[0:1], off
	v_cmp_gt_i32_e64 s0, s8, v4
	s_waitcnt vmcnt(0)
	v_cmp_gt_i32_e32 vcc_lo, s10, v0
	s_and_b32 s35, vcc_lo, s0
	s_delay_alu instid0(SALU_CYCLE_1)
	s_and_saveexec_b32 s0, s35
	s_cbranch_execz .LBB55_35
; %bb.34:                               ;   in Loop: Header=BB55_6 Depth=1
	v_mul_lo_u32 v6, s11, v4
	v_mad_u64_u32 v[31:32], null, v0, s12, v[4:5]
	s_delay_alu instid0(VALU_DEP_2) | instskip(NEXT) | instid1(VALU_DEP_1)
	v_add3_u32 v6, v8, s30, v6
	v_add_nc_u16 v0, v6, 1
	global_store_b8 v31, v0, s[2:3]
.LBB55_35:                              ;   in Loop: Header=BB55_6 Depth=1
	s_or_b32 exec_lo, exec_lo, s0
	v_mul_hi_u32 v0, s6, v13
	v_cmp_gt_i32_e32 vcc_lo, s10, v1
	s_delay_alu instid0(VALU_DEP_2) | instskip(NEXT) | instid1(VALU_DEP_1)
	v_add3_u32 v0, s21, v0, v30
	v_lshrrev_b32_e32 v0, s7, v0
	s_delay_alu instid0(VALU_DEP_1) | instskip(NEXT) | instid1(VALU_DEP_1)
	v_cmp_gt_i32_e64 s0, s8, v0
	s_and_b32 s35, vcc_lo, s0
	s_delay_alu instid0(SALU_CYCLE_1)
	s_and_saveexec_b32 s0, s35
	s_cbranch_execz .LBB55_37
; %bb.36:                               ;   in Loop: Header=BB55_6 Depth=1
	v_mul_lo_u32 v4, s11, v0
	v_mad_u64_u32 v[31:32], null, v1, s12, v[0:1]
	s_delay_alu instid0(VALU_DEP_2) | instskip(NEXT) | instid1(VALU_DEP_1)
	v_add3_u32 v4, v8, s30, v4
	v_add_nc_u16 v0, v4, 2
	global_store_b8 v31, v0, s[2:3]
.LBB55_37:                              ;   in Loop: Header=BB55_6 Depth=1
	s_or_b32 exec_lo, exec_lo, s0
	v_mul_hi_u32 v0, s6, v12
	v_cmp_gt_i32_e32 vcc_lo, s10, v2
	s_delay_alu instid0(VALU_DEP_2) | instskip(NEXT) | instid1(VALU_DEP_1)
	v_add3_u32 v0, s20, v0, v30
	v_lshrrev_b32_e32 v0, s7, v0
	s_delay_alu instid0(VALU_DEP_1) | instskip(NEXT) | instid1(VALU_DEP_1)
	v_cmp_gt_i32_e64 s0, s8, v0
	s_and_b32 s35, vcc_lo, s0
	s_delay_alu instid0(SALU_CYCLE_1)
	s_and_saveexec_b32 s0, s35
	s_cbranch_execz .LBB55_39
; %bb.38:                               ;   in Loop: Header=BB55_6 Depth=1
	v_mul_lo_u32 v1, s11, v0
	s_delay_alu instid0(VALU_DEP_1) | instskip(NEXT) | instid1(VALU_DEP_1)
	v_add3_u32 v1, v8, s30, v1
	v_mad_u64_u32 v[31:32], null, v2, s12, v[0:1]
	v_add_nc_u16 v0, v1, 3
	global_store_b8 v31, v0, s[2:3]
.LBB55_39:                              ;   in Loop: Header=BB55_6 Depth=1
	s_or_b32 exec_lo, exec_lo, s0
	v_mul_hi_u32 v0, s6, v11
	v_cmp_gt_i32_e32 vcc_lo, s10, v3
	s_delay_alu instid0(VALU_DEP_2) | instskip(NEXT) | instid1(VALU_DEP_1)
	v_add3_u32 v0, s19, v0, v30
	v_lshrrev_b32_e32 v0, s7, v0
	s_delay_alu instid0(VALU_DEP_1) | instskip(NEXT) | instid1(VALU_DEP_1)
	v_cmp_gt_i32_e64 s0, s8, v0
	s_and_b32 s35, vcc_lo, s0
	s_delay_alu instid0(SALU_CYCLE_1)
	s_and_saveexec_b32 s0, s35
	s_cbranch_execz .LBB55_2
; %bb.40:                               ;   in Loop: Header=BB55_6 Depth=1
	v_mul_lo_u32 v1, s11, v0
	s_delay_alu instid0(VALU_DEP_1) | instskip(SKIP_1) | instid1(VALU_DEP_2)
	v_add3_u32 v4, v8, s30, v1
	v_mad_u64_u32 v[1:2], null, v3, s12, v[0:1]
	v_add_nc_u16 v0, v4, 4
	global_store_b8 v1, v0, s[2:3]
	s_branch .LBB55_2
.LBB55_41:
	s_nop 0
	s_sendmsg sendmsg(MSG_DEALLOC_VGPRS)
	s_endpgm
	.section	.rodata,"a",@progbits
	.p2align	6, 0x0
	.amdhsa_kernel _ZN5aiter22opus_moe_sorting_entryINS_32MoeSortingMultiPhaseKernel_P0_v1INS_19MoeSortingProblemMpIifhLi4ELb1ELb1ELb1EEEEENS4_5KargsEEEvT0_
		.amdhsa_group_segment_fixed_size 0
		.amdhsa_private_segment_fixed_size 0
		.amdhsa_kernarg_size 304
		.amdhsa_user_sgpr_count 15
		.amdhsa_user_sgpr_dispatch_ptr 0
		.amdhsa_user_sgpr_queue_ptr 0
		.amdhsa_user_sgpr_kernarg_segment_ptr 1
		.amdhsa_user_sgpr_dispatch_id 0
		.amdhsa_user_sgpr_private_segment_size 0
		.amdhsa_wavefront_size32 1
		.amdhsa_uses_dynamic_stack 0
		.amdhsa_enable_private_segment 0
		.amdhsa_system_sgpr_workgroup_id_x 1
		.amdhsa_system_sgpr_workgroup_id_y 0
		.amdhsa_system_sgpr_workgroup_id_z 0
		.amdhsa_system_sgpr_workgroup_info 0
		.amdhsa_system_vgpr_workitem_id 0
		.amdhsa_next_free_vgpr 34
		.amdhsa_next_free_sgpr 36
		.amdhsa_reserve_vcc 1
		.amdhsa_float_round_mode_32 0
		.amdhsa_float_round_mode_16_64 0
		.amdhsa_float_denorm_mode_32 3
		.amdhsa_float_denorm_mode_16_64 3
		.amdhsa_dx10_clamp 1
		.amdhsa_ieee_mode 1
		.amdhsa_fp16_overflow 0
		.amdhsa_workgroup_processor_mode 1
		.amdhsa_memory_ordered 1
		.amdhsa_forward_progress 0
		.amdhsa_shared_vgpr_count 0
		.amdhsa_exception_fp_ieee_invalid_op 0
		.amdhsa_exception_fp_denorm_src 0
		.amdhsa_exception_fp_ieee_div_zero 0
		.amdhsa_exception_fp_ieee_overflow 0
		.amdhsa_exception_fp_ieee_underflow 0
		.amdhsa_exception_fp_ieee_inexact 0
		.amdhsa_exception_int_div_zero 0
	.end_amdhsa_kernel
	.section	.text._ZN5aiter22opus_moe_sorting_entryINS_32MoeSortingMultiPhaseKernel_P0_v1INS_19MoeSortingProblemMpIifhLi4ELb1ELb1ELb1EEEEENS4_5KargsEEEvT0_,"axG",@progbits,_ZN5aiter22opus_moe_sorting_entryINS_32MoeSortingMultiPhaseKernel_P0_v1INS_19MoeSortingProblemMpIifhLi4ELb1ELb1ELb1EEEEENS4_5KargsEEEvT0_,comdat
.Lfunc_end55:
	.size	_ZN5aiter22opus_moe_sorting_entryINS_32MoeSortingMultiPhaseKernel_P0_v1INS_19MoeSortingProblemMpIifhLi4ELb1ELb1ELb1EEEEENS4_5KargsEEEvT0_, .Lfunc_end55-_ZN5aiter22opus_moe_sorting_entryINS_32MoeSortingMultiPhaseKernel_P0_v1INS_19MoeSortingProblemMpIifhLi4ELb1ELb1ELb1EEEEENS4_5KargsEEEvT0_
                                        ; -- End function
	.section	.AMDGPU.csdata,"",@progbits
; Kernel info:
; codeLenInByte = 2456
; NumSgprs: 38
; NumVgprs: 34
; ScratchSize: 0
; MemoryBound: 0
; FloatMode: 240
; IeeeMode: 1
; LDSByteSize: 0 bytes/workgroup (compile time only)
; SGPRBlocks: 4
; VGPRBlocks: 4
; NumSGPRsForWavesPerEU: 38
; NumVGPRsForWavesPerEU: 34
; Occupancy: 16
; WaveLimiterHint : 1
; COMPUTE_PGM_RSRC2:SCRATCH_EN: 0
; COMPUTE_PGM_RSRC2:USER_SGPR: 15
; COMPUTE_PGM_RSRC2:TRAP_HANDLER: 0
; COMPUTE_PGM_RSRC2:TGID_X_EN: 1
; COMPUTE_PGM_RSRC2:TGID_Y_EN: 0
; COMPUTE_PGM_RSRC2:TGID_Z_EN: 0
; COMPUTE_PGM_RSRC2:TIDIG_COMP_CNT: 0
	.section	.text._ZN5aiter22opus_moe_sorting_entryINS_29MoeSortingMultiPhaseKernel_P1INS_19MoeSortingProblemMpIifhLi16ELb1ELb1ELb1EEEEENS4_5KargsEEEvT0_,"axG",@progbits,_ZN5aiter22opus_moe_sorting_entryINS_29MoeSortingMultiPhaseKernel_P1INS_19MoeSortingProblemMpIifhLi16ELb1ELb1ELb1EEEEENS4_5KargsEEEvT0_,comdat
	.protected	_ZN5aiter22opus_moe_sorting_entryINS_29MoeSortingMultiPhaseKernel_P1INS_19MoeSortingProblemMpIifhLi16ELb1ELb1ELb1EEEEENS4_5KargsEEEvT0_ ; -- Begin function _ZN5aiter22opus_moe_sorting_entryINS_29MoeSortingMultiPhaseKernel_P1INS_19MoeSortingProblemMpIifhLi16ELb1ELb1ELb1EEEEENS4_5KargsEEEvT0_
	.globl	_ZN5aiter22opus_moe_sorting_entryINS_29MoeSortingMultiPhaseKernel_P1INS_19MoeSortingProblemMpIifhLi16ELb1ELb1ELb1EEEEENS4_5KargsEEEvT0_
	.p2align	8
	.type	_ZN5aiter22opus_moe_sorting_entryINS_29MoeSortingMultiPhaseKernel_P1INS_19MoeSortingProblemMpIifhLi16ELb1ELb1ELb1EEEEENS4_5KargsEEEvT0_,@function
_ZN5aiter22opus_moe_sorting_entryINS_29MoeSortingMultiPhaseKernel_P1INS_19MoeSortingProblemMpIifhLi16ELb1ELb1ELb1EEEEENS4_5KargsEEEvT0_: ; @_ZN5aiter22opus_moe_sorting_entryINS_29MoeSortingMultiPhaseKernel_P1INS_19MoeSortingProblemMpIifhLi16ELb1ELb1ELb1EEEEENS4_5KargsEEEvT0_
; %bb.0:
	s_load_b256 s[0:7], s[0:1], 0x0
	s_mov_b32 s10, s15
	s_ashr_i32 s11, s15, 31
	s_delay_alu instid0(SALU_CYCLE_1)
	s_lshl_b64 s[8:9], s[10:11], 2
	s_waitcnt lgkmcnt(0)
	s_add_u32 s0, s0, s8
	s_addc_u32 s1, s1, s9
	s_load_b32 s0, s[0:1], 0x0
	s_waitcnt lgkmcnt(0)
	s_cmp_eq_u32 s0, 0
	s_cbranch_scc1 .LBB56_11
; %bb.1:
	s_load_b32 s0, s[2:3], 0x0
	s_waitcnt lgkmcnt(0)
	s_cmp_lt_i32 s0, 1
	s_cbranch_scc1 .LBB56_6
; %bb.2:
	s_add_i32 s0, s0, 31
	v_mbcnt_lo_u32_b32 v1, -1, 0
	s_ashr_i32 s1, s0, 31
	v_dual_mov_b32 v13, v0 :: v_dual_lshlrev_b32 v2, 4, v0
	s_lshr_b32 s1, s1, 27
	s_delay_alu instid0(VALU_DEP_2) | instskip(SKIP_1) | instid1(SALU_CYCLE_1)
	v_dual_mov_b32 v8, 0 :: v_dual_lshlrev_b32 v1, 2, v1
	s_add_i32 s0, s0, s1
	s_ashr_i32 s0, s0, 5
	s_delay_alu instid0(VALU_DEP_1)
	v_xor_b32_e32 v7, 4, v1
	s_mul_i32 s1, s10, s0
	s_lshl_b32 s0, s0, 1
	v_xor_b32_e32 v9, 8, v1
	s_add_i32 s2, s0, 0xff
	v_xor_b32_e32 v10, 16, v1
	s_ashr_i32 s3, s2, 31
	v_xor_b32_e32 v11, 32, v1
	s_lshr_b32 s3, s3, 24
	v_xor_b32_e32 v12, 64, v1
	s_add_i32 s2, s2, s3
	s_lshl_b32 s3, s1, 5
	s_ashr_i32 s1, s2, 8
	s_ashr_i32 s2, s3, 31
	s_max_i32 s1, s1, 1
	s_add_u32 s3, s4, s3
	s_addc_u32 s2, s5, s2
	v_add_co_u32 v5, s3, s3, v2
	s_delay_alu instid0(VALU_DEP_1)
	v_add_co_ci_u32_e64 v6, null, s2, 0, s3
	s_branch .LBB56_4
.LBB56_3:                               ;   in Loop: Header=BB56_4 Depth=1
	s_or_b32 exec_lo, exec_lo, s2
	s_waitcnt vmcnt(0)
	v_lshrrev_b32_e32 v14, 8, v1
	v_lshrrev_b32_e32 v15, 16, v1
	v_and_b32_e32 v18, 0xff, v1
	v_and_b32_e32 v19, 0xff, v2
	v_lshrrev_b32_e32 v1, 24, v1
	v_and_b32_e32 v14, 0xff, v14
	v_and_b32_e32 v15, 0xff, v15
	v_lshrrev_b32_e32 v17, 8, v2
	v_lshrrev_b32_e32 v16, 16, v2
	;; [unrolled: 1-line block ×3, first 2 shown]
	v_cmp_ne_u16_e32 vcc_lo, 0, v14
	v_add_nc_u32_e32 v13, 0x100, v13
	v_and_b32_e32 v17, 0xff, v17
	s_add_i32 s1, s1, -1
	s_delay_alu instid0(SALU_CYCLE_1) | instskip(SKIP_4) | instid1(VALU_DEP_4)
	s_cmp_eq_u32 s1, 0
	v_cndmask_b32_e64 v14, 0, 1, vcc_lo
	v_cmp_ne_u16_e32 vcc_lo, 0, v15
	v_cndmask_b32_e64 v15, 0, 1, vcc_lo
	v_cmp_ne_u16_e32 vcc_lo, 0, v18
	v_add_co_ci_u32_e32 v14, vcc_lo, 0, v14, vcc_lo
	v_cmp_ne_u16_e32 vcc_lo, 0, v19
	v_cndmask_b32_e64 v18, 0, 1, vcc_lo
	v_cmp_ne_u16_e32 vcc_lo, 0, v1
	s_delay_alu instid0(VALU_DEP_4)
	v_add_co_ci_u32_e32 v1, vcc_lo, v14, v15, vcc_lo
	v_cmp_ne_u16_e32 vcc_lo, 0, v17
	v_and_b32_e32 v14, 0xff, v16
	v_and_b32_e32 v15, 0xff, v3
	v_lshrrev_b32_e32 v16, 8, v3
	v_add_co_ci_u32_e32 v1, vcc_lo, v1, v18, vcc_lo
	s_delay_alu instid0(VALU_DEP_4) | instskip(SKIP_4) | instid1(VALU_DEP_4)
	v_cmp_ne_u16_e32 vcc_lo, 0, v14
	v_cndmask_b32_e64 v14, 0, 1, vcc_lo
	v_cmp_ne_u16_e32 vcc_lo, 0, v2
	v_lshrrev_b32_e32 v2, 16, v3
	v_lshrrev_b32_e32 v3, 24, v3
	v_add_co_ci_u32_e32 v1, vcc_lo, v1, v14, vcc_lo
	v_and_b32_e32 v14, 0xff, v16
	v_cmp_ne_u16_e32 vcc_lo, 0, v15
	v_and_b32_e32 v2, 0xff, v2
	v_lshrrev_b32_e32 v16, 16, v4
	v_cndmask_b32_e64 v15, 0, 1, vcc_lo
	v_cmp_ne_u16_e32 vcc_lo, 0, v14
	v_lshrrev_b32_e32 v14, 8, v4
	s_delay_alu instid0(VALU_DEP_3) | instskip(SKIP_4) | instid1(VALU_DEP_2)
	v_add_co_ci_u32_e32 v1, vcc_lo, v1, v15, vcc_lo
	v_cmp_ne_u16_e32 vcc_lo, 0, v2
	v_and_b32_e32 v15, 0xff, v4
	v_cndmask_b32_e64 v2, 0, 1, vcc_lo
	v_cmp_ne_u16_e32 vcc_lo, 0, v3
	v_add_co_ci_u32_e32 v1, vcc_lo, v1, v2, vcc_lo
	v_and_b32_e32 v2, 0xff, v14
	v_cmp_ne_u16_e32 vcc_lo, 0, v15
	v_and_b32_e32 v14, 0xff, v16
	v_cndmask_b32_e64 v3, 0, 1, vcc_lo
	s_delay_alu instid0(VALU_DEP_4) | instskip(SKIP_1) | instid1(VALU_DEP_3)
	v_cmp_ne_u16_e32 vcc_lo, 0, v2
	v_lshrrev_b32_e32 v2, 24, v4
	v_add_co_ci_u32_e32 v1, vcc_lo, v1, v3, vcc_lo
	v_cmp_ne_u16_e32 vcc_lo, 0, v14
	v_cndmask_b32_e64 v3, 0, 1, vcc_lo
	s_delay_alu instid0(VALU_DEP_4) | instskip(NEXT) | instid1(VALU_DEP_2)
	v_cmp_ne_u16_e32 vcc_lo, 0, v2
	v_add_co_ci_u32_e32 v1, vcc_lo, v1, v3, vcc_lo
	v_add_co_u32 v5, vcc_lo, 0x1000, v5
	v_add_co_ci_u32_e32 v6, vcc_lo, 0, v6, vcc_lo
	ds_bpermute_b32 v2, v7, v1
	s_waitcnt lgkmcnt(0)
	v_add_nc_u32_e32 v1, v1, v2
	ds_bpermute_b32 v2, v9, v1
	s_waitcnt lgkmcnt(0)
	v_add_nc_u32_e32 v1, v1, v2
	;; [unrolled: 3-line block ×4, first 2 shown]
	ds_bpermute_b32 v2, v12, v1
	s_waitcnt lgkmcnt(0)
	v_add3_u32 v8, v2, v8, v1
	s_cbranch_scc1 .LBB56_7
.LBB56_4:                               ; =>This Inner Loop Header: Depth=1
	v_dual_mov_b32 v1, 0 :: v_dual_mov_b32 v2, 0
	v_dual_mov_b32 v3, 0 :: v_dual_mov_b32 v4, 0
	s_mov_b32 s2, exec_lo
	v_cmpx_gt_i32_e64 s0, v13
	s_cbranch_execz .LBB56_3
; %bb.5:                                ;   in Loop: Header=BB56_4 Depth=1
	global_load_b128 v[1:4], v[5:6], off
	s_branch .LBB56_3
.LBB56_6:
	v_mov_b32_e32 v8, 0
.LBB56_7:
	v_and_b32_e32 v1, 31, v0
	s_mov_b32 s0, exec_lo
	s_delay_alu instid0(VALU_DEP_1)
	v_cmpx_eq_u32_e32 0, v1
	s_cbranch_execz .LBB56_9
; %bb.8:
	v_lshrrev_b32_e32 v1, 3, v0
	ds_store_b32 v1, v8
.LBB56_9:
	s_or_b32 exec_lo, exec_lo, s0
	s_waitcnt lgkmcnt(0)
	s_barrier
	buffer_gl0_inv
	s_mov_b32 s0, exec_lo
	v_cmpx_eq_u32_e32 0, v0
	s_cbranch_execz .LBB56_11
; %bb.10:
	v_mov_b32_e32 v8, 0
	s_add_u32 s0, s6, s8
	s_addc_u32 s1, s7, s9
	ds_load_b128 v[0:3], v8
	ds_load_b128 v[4:7], v8 offset:16
	s_waitcnt lgkmcnt(1)
	v_add_nc_u32_e32 v0, v1, v0
	s_delay_alu instid0(VALU_DEP_1) | instskip(NEXT) | instid1(VALU_DEP_1)
	v_add_nc_u32_e32 v0, v0, v2
	v_add_nc_u32_e32 v0, v0, v3
	s_waitcnt lgkmcnt(0)
	s_delay_alu instid0(VALU_DEP_1) | instskip(NEXT) | instid1(VALU_DEP_1)
	v_add_nc_u32_e32 v0, v0, v4
	v_add_nc_u32_e32 v0, v0, v5
	s_delay_alu instid0(VALU_DEP_1) | instskip(NEXT) | instid1(VALU_DEP_1)
	v_add_nc_u32_e32 v0, v0, v6
	v_add_nc_u32_e32 v0, v0, v7
	global_store_b32 v8, v0, s[0:1]
.LBB56_11:
	s_nop 0
	s_sendmsg sendmsg(MSG_DEALLOC_VGPRS)
	s_endpgm
	.section	.rodata,"a",@progbits
	.p2align	6, 0x0
	.amdhsa_kernel _ZN5aiter22opus_moe_sorting_entryINS_29MoeSortingMultiPhaseKernel_P1INS_19MoeSortingProblemMpIifhLi16ELb1ELb1ELb1EEEEENS4_5KargsEEEvT0_
		.amdhsa_group_segment_fixed_size 32
		.amdhsa_private_segment_fixed_size 0
		.amdhsa_kernarg_size 40
		.amdhsa_user_sgpr_count 15
		.amdhsa_user_sgpr_dispatch_ptr 0
		.amdhsa_user_sgpr_queue_ptr 0
		.amdhsa_user_sgpr_kernarg_segment_ptr 1
		.amdhsa_user_sgpr_dispatch_id 0
		.amdhsa_user_sgpr_private_segment_size 0
		.amdhsa_wavefront_size32 1
		.amdhsa_uses_dynamic_stack 0
		.amdhsa_enable_private_segment 0
		.amdhsa_system_sgpr_workgroup_id_x 1
		.amdhsa_system_sgpr_workgroup_id_y 0
		.amdhsa_system_sgpr_workgroup_id_z 0
		.amdhsa_system_sgpr_workgroup_info 0
		.amdhsa_system_vgpr_workitem_id 0
		.amdhsa_next_free_vgpr 20
		.amdhsa_next_free_sgpr 16
		.amdhsa_reserve_vcc 1
		.amdhsa_float_round_mode_32 0
		.amdhsa_float_round_mode_16_64 0
		.amdhsa_float_denorm_mode_32 3
		.amdhsa_float_denorm_mode_16_64 3
		.amdhsa_dx10_clamp 1
		.amdhsa_ieee_mode 1
		.amdhsa_fp16_overflow 0
		.amdhsa_workgroup_processor_mode 1
		.amdhsa_memory_ordered 1
		.amdhsa_forward_progress 0
		.amdhsa_shared_vgpr_count 0
		.amdhsa_exception_fp_ieee_invalid_op 0
		.amdhsa_exception_fp_denorm_src 0
		.amdhsa_exception_fp_ieee_div_zero 0
		.amdhsa_exception_fp_ieee_overflow 0
		.amdhsa_exception_fp_ieee_underflow 0
		.amdhsa_exception_fp_ieee_inexact 0
		.amdhsa_exception_int_div_zero 0
	.end_amdhsa_kernel
	.section	.text._ZN5aiter22opus_moe_sorting_entryINS_29MoeSortingMultiPhaseKernel_P1INS_19MoeSortingProblemMpIifhLi16ELb1ELb1ELb1EEEEENS4_5KargsEEEvT0_,"axG",@progbits,_ZN5aiter22opus_moe_sorting_entryINS_29MoeSortingMultiPhaseKernel_P1INS_19MoeSortingProblemMpIifhLi16ELb1ELb1ELb1EEEEENS4_5KargsEEEvT0_,comdat
.Lfunc_end56:
	.size	_ZN5aiter22opus_moe_sorting_entryINS_29MoeSortingMultiPhaseKernel_P1INS_19MoeSortingProblemMpIifhLi16ELb1ELb1ELb1EEEEENS4_5KargsEEEvT0_, .Lfunc_end56-_ZN5aiter22opus_moe_sorting_entryINS_29MoeSortingMultiPhaseKernel_P1INS_19MoeSortingProblemMpIifhLi16ELb1ELb1ELb1EEEEENS4_5KargsEEEvT0_
                                        ; -- End function
	.section	.AMDGPU.csdata,"",@progbits
; Kernel info:
; codeLenInByte = 888
; NumSgprs: 18
; NumVgprs: 20
; ScratchSize: 0
; MemoryBound: 0
; FloatMode: 240
; IeeeMode: 1
; LDSByteSize: 32 bytes/workgroup (compile time only)
; SGPRBlocks: 2
; VGPRBlocks: 2
; NumSGPRsForWavesPerEU: 18
; NumVGPRsForWavesPerEU: 20
; Occupancy: 16
; WaveLimiterHint : 0
; COMPUTE_PGM_RSRC2:SCRATCH_EN: 0
; COMPUTE_PGM_RSRC2:USER_SGPR: 15
; COMPUTE_PGM_RSRC2:TRAP_HANDLER: 0
; COMPUTE_PGM_RSRC2:TGID_X_EN: 1
; COMPUTE_PGM_RSRC2:TGID_Y_EN: 0
; COMPUTE_PGM_RSRC2:TGID_Z_EN: 0
; COMPUTE_PGM_RSRC2:TIDIG_COMP_CNT: 0
	.section	.text._ZN5aiter22opus_moe_sorting_entryINS_32MoeSortingMultiPhaseKernel_P0_v1INS_19MoeSortingProblemMpIifhLi4ELb1ELb0ELb1EEEEENS4_5KargsEEEvT0_,"axG",@progbits,_ZN5aiter22opus_moe_sorting_entryINS_32MoeSortingMultiPhaseKernel_P0_v1INS_19MoeSortingProblemMpIifhLi4ELb1ELb0ELb1EEEEENS4_5KargsEEEvT0_,comdat
	.protected	_ZN5aiter22opus_moe_sorting_entryINS_32MoeSortingMultiPhaseKernel_P0_v1INS_19MoeSortingProblemMpIifhLi4ELb1ELb0ELb1EEEEENS4_5KargsEEEvT0_ ; -- Begin function _ZN5aiter22opus_moe_sorting_entryINS_32MoeSortingMultiPhaseKernel_P0_v1INS_19MoeSortingProblemMpIifhLi4ELb1ELb0ELb1EEEEENS4_5KargsEEEvT0_
	.globl	_ZN5aiter22opus_moe_sorting_entryINS_32MoeSortingMultiPhaseKernel_P0_v1INS_19MoeSortingProblemMpIifhLi4ELb1ELb0ELb1EEEEENS4_5KargsEEEvT0_
	.p2align	8
	.type	_ZN5aiter22opus_moe_sorting_entryINS_32MoeSortingMultiPhaseKernel_P0_v1INS_19MoeSortingProblemMpIifhLi4ELb1ELb0ELb1EEEEENS4_5KargsEEEvT0_,@function
_ZN5aiter22opus_moe_sorting_entryINS_32MoeSortingMultiPhaseKernel_P0_v1INS_19MoeSortingProblemMpIifhLi4ELb1ELb0ELb1EEEEENS4_5KargsEEEvT0_: ; @_ZN5aiter22opus_moe_sorting_entryINS_32MoeSortingMultiPhaseKernel_P0_v1INS_19MoeSortingProblemMpIifhLi4ELb1ELb0ELb1EEEEENS4_5KargsEEEvT0_
; %bb.0:
	s_load_b128 s[4:7], s[0:1], 0x18
	s_lshl_b32 s22, s15, 8
	s_delay_alu instid0(SALU_CYCLE_1) | instskip(SKIP_2) | instid1(SALU_CYCLE_1)
	v_add_nc_u32_e32 v4, s22, v0
	s_waitcnt lgkmcnt(0)
	s_mul_i32 s2, s7, s4
	s_lshr_b32 s4, s2, 2
	s_mov_b32 s2, exec_lo
	v_cmpx_gt_i32_e64 s4, v4
	s_cbranch_execz .LBB57_41
; %bb.1:
	s_load_b32 s23, s[0:1], 0x30
	v_lshlrev_b32_e32 v1, 2, v0
	s_lshl_b32 s24, s15, 10
	s_clause 0x2
	s_load_b64 s[2:3], s[0:1], 0x0
	s_load_b64 s[8:9], s[0:1], 0x10
	;; [unrolled: 1-line block ×3, first 2 shown]
	s_mov_b32 s10, 0
	s_sub_i32 s7, 0, s7
	v_add_nc_u32_e32 v7, s24, v1
	s_mov_b32 s28, 0
	s_delay_alu instid0(VALU_DEP_1) | instskip(NEXT) | instid1(VALU_DEP_1)
	v_or_b32_e32 v8, 1, v7
	v_mov_b32_e32 v28, v8
	v_or_b32_e32 v9, 2, v7
	v_or_b32_e32 v10, 3, v7
	v_mov_b32_e32 v29, v7
	s_waitcnt lgkmcnt(0)
	s_lshl_b32 s15, s23, 9
	s_mul_i32 s21, s23, 0x300
	s_lshl_b32 s11, s23, 8
	s_add_i32 s19, s22, s15
	s_add_i32 s25, s22, s21
	v_add_lshl_u32 v12, v4, s11, 2
	v_add_lshl_u32 v14, s19, v0, 2
	v_add_lshl_u32 v20, s25, v0, 2
	s_lshl_b32 s12, s23, 12
	s_lshl_b32 s13, s23, 10
	s_lshl_b32 s14, s23, 11
	s_mulk_i32 s23, 0xc00
	v_or_b32_e32 v15, 1, v12
	v_or_b32_e32 v16, 2, v12
	;; [unrolled: 1-line block ×9, first 2 shown]
	v_mov_b32_e32 v26, v10
	v_add3_u32 v11, s24, s13, v1
	v_add3_u32 v13, s14, s24, v1
	;; [unrolled: 1-line block ×3, first 2 shown]
	v_mov_b32_e32 v27, v9
	s_or_b32 s16, s13, 1
	s_or_b32 s17, s13, 2
	;; [unrolled: 1-line block ×9, first 2 shown]
	s_add_i32 s27, s11, s11
	s_branch .LBB57_6
.LBB57_2:                               ;   in Loop: Header=BB57_6 Depth=1
	s_or_b32 exec_lo, exec_lo, s33
	v_add3_u32 v4, s27, s11, v5
	v_add_nc_u32_e32 v29, s12, v29
	v_add_nc_u32_e32 v28, s12, v28
	;; [unrolled: 1-line block ×4, first 2 shown]
	v_cmp_le_i32_e32 vcc_lo, s4, v4
	v_add_nc_u32_e32 v12, s12, v12
	v_add_nc_u32_e32 v15, s12, v15
	;; [unrolled: 1-line block ×12, first 2 shown]
	s_add_i32 s28, s28, s12
	s_or_not1_b32 s33, vcc_lo, exec_lo
.LBB57_3:                               ;   in Loop: Header=BB57_6 Depth=1
	s_or_b32 exec_lo, exec_lo, s31
	s_delay_alu instid0(SALU_CYCLE_1)
	s_or_not1_b32 s31, s33, exec_lo
.LBB57_4:                               ;   in Loop: Header=BB57_6 Depth=1
	s_or_b32 exec_lo, exec_lo, s30
	s_delay_alu instid0(SALU_CYCLE_1)
	s_or_not1_b32 s30, s31, exec_lo
.LBB57_5:                               ;   in Loop: Header=BB57_6 Depth=1
	s_or_b32 exec_lo, exec_lo, s29
	s_delay_alu instid0(SALU_CYCLE_1) | instskip(NEXT) | instid1(SALU_CYCLE_1)
	s_and_b32 s29, exec_lo, s30
	s_or_b32 s10, s29, s10
	s_delay_alu instid0(SALU_CYCLE_1)
	s_and_not1_b32 exec_lo, exec_lo, s10
	s_cbranch_execz .LBB57_41
.LBB57_6:                               ; =>This Inner Loop Header: Depth=1
	v_ashrrev_i32_e32 v5, 31, v4
	s_mov_b32 s29, exec_lo
	s_delay_alu instid0(VALU_DEP_1) | instskip(NEXT) | instid1(VALU_DEP_1)
	v_lshlrev_b64 v[0:1], 4, v[4:5]
	v_add_co_u32 v0, vcc_lo, s2, v0
	s_delay_alu instid0(VALU_DEP_2)
	v_add_co_ci_u32_e32 v1, vcc_lo, s3, v1, vcc_lo
	global_load_b128 v[0:3], v[0:1], off
	s_waitcnt vmcnt(0)
	v_cmpx_gt_i32_e64 s5, v0
	s_cbranch_execnz .LBB57_28
; %bb.7:                                ;   in Loop: Header=BB57_6 Depth=1
	s_or_b32 exec_lo, exec_lo, s29
	s_delay_alu instid0(SALU_CYCLE_1)
	s_mov_b32 s29, exec_lo
	v_cmpx_gt_i32_e64 s5, v1
	s_cbranch_execnz .LBB57_29
.LBB57_8:                               ;   in Loop: Header=BB57_6 Depth=1
	s_or_b32 exec_lo, exec_lo, s29
	s_delay_alu instid0(SALU_CYCLE_1)
	s_mov_b32 s29, exec_lo
	v_cmpx_gt_i32_e64 s5, v2
	s_cbranch_execnz .LBB57_30
.LBB57_9:                               ;   in Loop: Header=BB57_6 Depth=1
	s_or_b32 exec_lo, exec_lo, s29
	s_delay_alu instid0(SALU_CYCLE_1)
	s_mov_b32 s29, exec_lo
	v_cmpx_gt_i32_e64 s5, v3
	s_cbranch_execz .LBB57_11
.LBB57_10:                              ;   in Loop: Header=BB57_6 Depth=1
	v_mul_hi_u32 v0, s0, v26
	s_delay_alu instid0(VALU_DEP_1) | instskip(NEXT) | instid1(VALU_DEP_1)
	v_add3_u32 v0, v10, v0, s28
	v_lshrrev_b32_e32 v0, s1, v0
	s_delay_alu instid0(VALU_DEP_1) | instskip(NEXT) | instid1(VALU_DEP_1)
	v_mul_lo_u32 v1, s7, v0
	v_add3_u32 v5, v7, s28, v1
	v_mad_u64_u32 v[1:2], null, v3, s6, v[0:1]
	s_delay_alu instid0(VALU_DEP_2)
	v_add_nc_u16 v0, v5, 4
	global_store_b8 v1, v0, s[8:9]
.LBB57_11:                              ;   in Loop: Header=BB57_6 Depth=1
	s_or_b32 exec_lo, exec_lo, s29
	v_add_nc_u32_e32 v5, s11, v4
	s_mov_b32 s30, -1
	s_mov_b32 s29, exec_lo
	s_delay_alu instid0(VALU_DEP_1)
	v_cmpx_gt_i32_e64 s4, v5
	s_cbranch_execz .LBB57_5
; %bb.12:                               ;   in Loop: Header=BB57_6 Depth=1
	v_ashrrev_i32_e32 v6, 31, v5
	s_mov_b32 s30, exec_lo
	s_delay_alu instid0(VALU_DEP_1) | instskip(NEXT) | instid1(VALU_DEP_1)
	v_lshlrev_b64 v[0:1], 4, v[5:6]
	v_add_co_u32 v0, vcc_lo, s2, v0
	s_delay_alu instid0(VALU_DEP_2)
	v_add_co_ci_u32_e32 v1, vcc_lo, s3, v1, vcc_lo
	global_load_b128 v[0:3], v[0:1], off
	s_waitcnt vmcnt(0)
	v_cmpx_gt_i32_e64 s5, v0
	s_cbranch_execnz .LBB57_31
; %bb.13:                               ;   in Loop: Header=BB57_6 Depth=1
	s_or_b32 exec_lo, exec_lo, s30
	s_delay_alu instid0(SALU_CYCLE_1)
	s_mov_b32 s30, exec_lo
	v_cmpx_gt_i32_e64 s5, v1
	s_cbranch_execnz .LBB57_32
.LBB57_14:                              ;   in Loop: Header=BB57_6 Depth=1
	s_or_b32 exec_lo, exec_lo, s30
	s_delay_alu instid0(SALU_CYCLE_1)
	s_mov_b32 s30, exec_lo
	v_cmpx_gt_i32_e64 s5, v2
	s_cbranch_execnz .LBB57_33
.LBB57_15:                              ;   in Loop: Header=BB57_6 Depth=1
	s_or_b32 exec_lo, exec_lo, s30
	s_delay_alu instid0(SALU_CYCLE_1)
	s_mov_b32 s30, exec_lo
	v_cmpx_gt_i32_e64 s5, v3
	s_cbranch_execz .LBB57_17
.LBB57_16:                              ;   in Loop: Header=BB57_6 Depth=1
	v_mul_hi_u32 v0, s0, v17
	s_delay_alu instid0(VALU_DEP_1) | instskip(NEXT) | instid1(VALU_DEP_1)
	v_add_nc_u32_e32 v0, s18, v0
	v_add3_u32 v0, v7, s28, v0
	s_delay_alu instid0(VALU_DEP_1) | instskip(NEXT) | instid1(VALU_DEP_1)
	v_lshrrev_b32_e32 v0, s1, v0
	v_mul_lo_u32 v1, s7, v0
	s_delay_alu instid0(VALU_DEP_1) | instskip(SKIP_1) | instid1(VALU_DEP_2)
	v_add3_u32 v6, v11, s28, v1
	v_mad_u64_u32 v[1:2], null, v3, s6, v[0:1]
	v_add_nc_u16 v0, v6, 4
	global_store_b8 v1, v0, s[8:9]
.LBB57_17:                              ;   in Loop: Header=BB57_6 Depth=1
	s_or_b32 exec_lo, exec_lo, s30
	v_add_nc_u32_e32 v0, s15, v4
	s_mov_b32 s31, -1
	s_mov_b32 s30, exec_lo
	s_delay_alu instid0(VALU_DEP_1)
	v_cmpx_gt_i32_e64 s4, v0
	s_cbranch_execz .LBB57_4
; %bb.18:                               ;   in Loop: Header=BB57_6 Depth=1
	v_ashrrev_i32_e32 v1, 31, v0
	s_mov_b32 s31, exec_lo
	s_delay_alu instid0(VALU_DEP_1) | instskip(NEXT) | instid1(VALU_DEP_1)
	v_lshlrev_b64 v[0:1], 4, v[0:1]
	v_add_co_u32 v0, vcc_lo, s2, v0
	s_delay_alu instid0(VALU_DEP_2)
	v_add_co_ci_u32_e32 v1, vcc_lo, s3, v1, vcc_lo
	global_load_b128 v[0:3], v[0:1], off
	s_waitcnt vmcnt(0)
	v_cmpx_gt_i32_e64 s5, v0
	s_cbranch_execnz .LBB57_34
; %bb.19:                               ;   in Loop: Header=BB57_6 Depth=1
	s_or_b32 exec_lo, exec_lo, s31
	s_delay_alu instid0(SALU_CYCLE_1)
	s_mov_b32 s31, exec_lo
	v_cmpx_gt_i32_e64 s5, v1
	s_cbranch_execnz .LBB57_35
.LBB57_20:                              ;   in Loop: Header=BB57_6 Depth=1
	s_or_b32 exec_lo, exec_lo, s31
	s_delay_alu instid0(SALU_CYCLE_1)
	s_mov_b32 s31, exec_lo
	v_cmpx_gt_i32_e64 s5, v2
	s_cbranch_execnz .LBB57_36
.LBB57_21:                              ;   in Loop: Header=BB57_6 Depth=1
	s_or_b32 exec_lo, exec_lo, s31
	s_delay_alu instid0(SALU_CYCLE_1)
	s_mov_b32 s31, exec_lo
	v_cmpx_gt_i32_e64 s5, v3
	s_cbranch_execz .LBB57_23
.LBB57_22:                              ;   in Loop: Header=BB57_6 Depth=1
	v_mul_hi_u32 v0, s0, v21
	s_delay_alu instid0(VALU_DEP_1) | instskip(NEXT) | instid1(VALU_DEP_1)
	v_add_nc_u32_e32 v0, s22, v0
	v_add3_u32 v0, v7, s28, v0
	s_delay_alu instid0(VALU_DEP_1) | instskip(NEXT) | instid1(VALU_DEP_1)
	v_lshrrev_b32_e32 v0, s1, v0
	v_mul_lo_u32 v1, s7, v0
	s_delay_alu instid0(VALU_DEP_1) | instskip(SKIP_1) | instid1(VALU_DEP_2)
	v_add3_u32 v6, v13, s28, v1
	v_mad_u64_u32 v[1:2], null, v3, s6, v[0:1]
	v_add_nc_u16 v0, v6, 4
	global_store_b8 v1, v0, s[8:9]
.LBB57_23:                              ;   in Loop: Header=BB57_6 Depth=1
	s_or_b32 exec_lo, exec_lo, s31
	v_add_nc_u32_e32 v0, s21, v4
	s_mov_b32 s33, -1
	s_mov_b32 s31, exec_lo
                                        ; implicit-def: $vgpr4
	s_delay_alu instid0(VALU_DEP_1)
	v_cmpx_gt_i32_e64 s4, v0
	s_cbranch_execz .LBB57_3
; %bb.24:                               ;   in Loop: Header=BB57_6 Depth=1
	v_ashrrev_i32_e32 v1, 31, v0
	s_mov_b32 s33, exec_lo
	s_delay_alu instid0(VALU_DEP_1) | instskip(NEXT) | instid1(VALU_DEP_1)
	v_lshlrev_b64 v[0:1], 4, v[0:1]
	v_add_co_u32 v0, vcc_lo, s2, v0
	s_delay_alu instid0(VALU_DEP_2)
	v_add_co_ci_u32_e32 v1, vcc_lo, s3, v1, vcc_lo
	global_load_b128 v[0:3], v[0:1], off
	s_waitcnt vmcnt(0)
	v_cmpx_gt_i32_e64 s5, v0
	s_cbranch_execnz .LBB57_37
; %bb.25:                               ;   in Loop: Header=BB57_6 Depth=1
	s_or_b32 exec_lo, exec_lo, s33
	s_delay_alu instid0(SALU_CYCLE_1)
	s_mov_b32 s33, exec_lo
	v_cmpx_gt_i32_e64 s5, v1
	s_cbranch_execnz .LBB57_38
.LBB57_26:                              ;   in Loop: Header=BB57_6 Depth=1
	s_or_b32 exec_lo, exec_lo, s33
	s_delay_alu instid0(SALU_CYCLE_1)
	s_mov_b32 s33, exec_lo
	v_cmpx_gt_i32_e64 s5, v2
	s_cbranch_execnz .LBB57_39
.LBB57_27:                              ;   in Loop: Header=BB57_6 Depth=1
	s_or_b32 exec_lo, exec_lo, s33
	s_delay_alu instid0(SALU_CYCLE_1)
	s_mov_b32 s33, exec_lo
	v_cmpx_gt_i32_e64 s5, v3
	s_cbranch_execz .LBB57_2
	s_branch .LBB57_40
.LBB57_28:                              ;   in Loop: Header=BB57_6 Depth=1
	v_mul_hi_u32 v6, s0, v29
	v_add_nc_u32_e32 v5, s28, v7
	s_delay_alu instid0(VALU_DEP_1) | instskip(NEXT) | instid1(VALU_DEP_1)
	v_add_nc_u32_e32 v6, v5, v6
	v_lshrrev_b32_e32 v6, s1, v6
	s_delay_alu instid0(VALU_DEP_1) | instskip(SKIP_1) | instid1(VALU_DEP_2)
	v_mad_u64_u32 v[30:31], null, s7, v6, v[5:6]
	v_mad_u64_u32 v[31:32], null, v0, s6, v[6:7]
	v_add_nc_u16 v0, v30, 1
	global_store_b8 v31, v0, s[8:9]
	s_or_b32 exec_lo, exec_lo, s29
	s_delay_alu instid0(SALU_CYCLE_1)
	s_mov_b32 s29, exec_lo
	v_cmpx_gt_i32_e64 s5, v1
	s_cbranch_execz .LBB57_8
.LBB57_29:                              ;   in Loop: Header=BB57_6 Depth=1
	v_mul_hi_u32 v0, s0, v28
	s_delay_alu instid0(VALU_DEP_1) | instskip(NEXT) | instid1(VALU_DEP_1)
	v_add3_u32 v0, v8, v0, s28
	v_lshrrev_b32_e32 v0, s1, v0
	s_delay_alu instid0(VALU_DEP_1) | instskip(NEXT) | instid1(VALU_DEP_1)
	v_mul_lo_u32 v5, s7, v0
	v_add3_u32 v30, v7, s28, v5
	v_mad_u64_u32 v[5:6], null, v1, s6, v[0:1]
	s_delay_alu instid0(VALU_DEP_2) | instskip(SKIP_2) | instid1(SALU_CYCLE_1)
	v_add_nc_u16 v0, v30, 2
	global_store_b8 v5, v0, s[8:9]
	s_or_b32 exec_lo, exec_lo, s29
	s_mov_b32 s29, exec_lo
	v_cmpx_gt_i32_e64 s5, v2
	s_cbranch_execz .LBB57_9
.LBB57_30:                              ;   in Loop: Header=BB57_6 Depth=1
	v_mul_hi_u32 v0, s0, v27
	s_delay_alu instid0(VALU_DEP_1) | instskip(NEXT) | instid1(VALU_DEP_1)
	v_add3_u32 v0, v9, v0, s28
	v_lshrrev_b32_e32 v0, s1, v0
	s_delay_alu instid0(VALU_DEP_1) | instskip(NEXT) | instid1(VALU_DEP_1)
	v_mul_lo_u32 v1, s7, v0
	v_add3_u32 v1, v7, s28, v1
	s_delay_alu instid0(VALU_DEP_1) | instskip(SKIP_3) | instid1(SALU_CYCLE_1)
	v_mad_u64_u32 v[5:6], null, v2, s6, v[0:1]
	v_add_nc_u16 v0, v1, 3
	global_store_b8 v5, v0, s[8:9]
	s_or_b32 exec_lo, exec_lo, s29
	s_mov_b32 s29, exec_lo
	v_cmpx_gt_i32_e64 s5, v3
	s_cbranch_execnz .LBB57_10
	s_branch .LBB57_11
.LBB57_31:                              ;   in Loop: Header=BB57_6 Depth=1
	v_mul_hi_u32 v6, s0, v12
	s_delay_alu instid0(VALU_DEP_1) | instskip(NEXT) | instid1(VALU_DEP_1)
	v_add_nc_u32_e32 v6, s13, v6
	v_add3_u32 v6, v7, s28, v6
	s_delay_alu instid0(VALU_DEP_1) | instskip(NEXT) | instid1(VALU_DEP_1)
	v_lshrrev_b32_e32 v6, s1, v6
	v_mul_lo_u32 v30, s7, v6
	s_delay_alu instid0(VALU_DEP_1) | instskip(SKIP_1) | instid1(VALU_DEP_2)
	v_add3_u32 v32, v11, s28, v30
	v_mad_u64_u32 v[30:31], null, v0, s6, v[6:7]
	v_add_nc_u16 v0, v32, 1
	global_store_b8 v30, v0, s[8:9]
	s_or_b32 exec_lo, exec_lo, s30
	s_delay_alu instid0(SALU_CYCLE_1)
	s_mov_b32 s30, exec_lo
	v_cmpx_gt_i32_e64 s5, v1
	s_cbranch_execz .LBB57_14
.LBB57_32:                              ;   in Loop: Header=BB57_6 Depth=1
	v_mul_hi_u32 v0, s0, v15
	s_delay_alu instid0(VALU_DEP_1) | instskip(NEXT) | instid1(VALU_DEP_1)
	v_add_nc_u32_e32 v0, s16, v0
	v_add3_u32 v0, v7, s28, v0
	s_delay_alu instid0(VALU_DEP_1) | instskip(NEXT) | instid1(VALU_DEP_1)
	v_lshrrev_b32_e32 v0, s1, v0
	v_mul_lo_u32 v6, s7, v0
	v_mad_u64_u32 v[30:31], null, v1, s6, v[0:1]
	s_delay_alu instid0(VALU_DEP_2) | instskip(NEXT) | instid1(VALU_DEP_1)
	v_add3_u32 v6, v11, s28, v6
	v_add_nc_u16 v0, v6, 2
	global_store_b8 v30, v0, s[8:9]
	s_or_b32 exec_lo, exec_lo, s30
	s_delay_alu instid0(SALU_CYCLE_1)
	s_mov_b32 s30, exec_lo
	v_cmpx_gt_i32_e64 s5, v2
	s_cbranch_execz .LBB57_15
.LBB57_33:                              ;   in Loop: Header=BB57_6 Depth=1
	v_mul_hi_u32 v0, s0, v16
	s_delay_alu instid0(VALU_DEP_1) | instskip(NEXT) | instid1(VALU_DEP_1)
	v_add_nc_u32_e32 v0, s17, v0
	v_add3_u32 v0, v7, s28, v0
	s_delay_alu instid0(VALU_DEP_1) | instskip(NEXT) | instid1(VALU_DEP_1)
	v_lshrrev_b32_e32 v0, s1, v0
	v_mul_lo_u32 v1, s7, v0
	s_delay_alu instid0(VALU_DEP_1) | instskip(NEXT) | instid1(VALU_DEP_1)
	v_add3_u32 v1, v11, s28, v1
	v_mad_u64_u32 v[30:31], null, v2, s6, v[0:1]
	v_add_nc_u16 v0, v1, 3
	global_store_b8 v30, v0, s[8:9]
	s_or_b32 exec_lo, exec_lo, s30
	s_delay_alu instid0(SALU_CYCLE_1)
	s_mov_b32 s30, exec_lo
	v_cmpx_gt_i32_e64 s5, v3
	s_cbranch_execnz .LBB57_16
	s_branch .LBB57_17
.LBB57_34:                              ;   in Loop: Header=BB57_6 Depth=1
	v_mul_hi_u32 v6, s0, v14
	s_delay_alu instid0(VALU_DEP_1) | instskip(NEXT) | instid1(VALU_DEP_1)
	v_add_nc_u32_e32 v6, s14, v6
	v_add3_u32 v6, v7, s28, v6
	s_delay_alu instid0(VALU_DEP_1) | instskip(NEXT) | instid1(VALU_DEP_1)
	v_lshrrev_b32_e32 v6, s1, v6
	v_mul_lo_u32 v30, s7, v6
	s_delay_alu instid0(VALU_DEP_1) | instskip(SKIP_1) | instid1(VALU_DEP_2)
	v_add3_u32 v32, v13, s28, v30
	v_mad_u64_u32 v[30:31], null, v0, s6, v[6:7]
	v_add_nc_u16 v0, v32, 1
	global_store_b8 v30, v0, s[8:9]
	s_or_b32 exec_lo, exec_lo, s31
	s_delay_alu instid0(SALU_CYCLE_1)
	s_mov_b32 s31, exec_lo
	v_cmpx_gt_i32_e64 s5, v1
	s_cbranch_execz .LBB57_20
.LBB57_35:                              ;   in Loop: Header=BB57_6 Depth=1
	v_mul_hi_u32 v0, s0, v18
	s_delay_alu instid0(VALU_DEP_1) | instskip(NEXT) | instid1(VALU_DEP_1)
	v_add_nc_u32_e32 v0, s19, v0
	v_add3_u32 v0, v7, s28, v0
	s_delay_alu instid0(VALU_DEP_1) | instskip(NEXT) | instid1(VALU_DEP_1)
	v_lshrrev_b32_e32 v0, s1, v0
	v_mul_lo_u32 v6, s7, v0
	v_mad_u64_u32 v[30:31], null, v1, s6, v[0:1]
	s_delay_alu instid0(VALU_DEP_2) | instskip(NEXT) | instid1(VALU_DEP_1)
	v_add3_u32 v6, v13, s28, v6
	v_add_nc_u16 v0, v6, 2
	global_store_b8 v30, v0, s[8:9]
	s_or_b32 exec_lo, exec_lo, s31
	s_delay_alu instid0(SALU_CYCLE_1)
	s_mov_b32 s31, exec_lo
	v_cmpx_gt_i32_e64 s5, v2
	s_cbranch_execz .LBB57_21
.LBB57_36:                              ;   in Loop: Header=BB57_6 Depth=1
	v_mul_hi_u32 v0, s0, v19
	s_delay_alu instid0(VALU_DEP_1) | instskip(NEXT) | instid1(VALU_DEP_1)
	v_add_nc_u32_e32 v0, s20, v0
	v_add3_u32 v0, v7, s28, v0
	s_delay_alu instid0(VALU_DEP_1) | instskip(NEXT) | instid1(VALU_DEP_1)
	v_lshrrev_b32_e32 v0, s1, v0
	v_mul_lo_u32 v1, s7, v0
	s_delay_alu instid0(VALU_DEP_1) | instskip(NEXT) | instid1(VALU_DEP_1)
	v_add3_u32 v1, v13, s28, v1
	v_mad_u64_u32 v[30:31], null, v2, s6, v[0:1]
	v_add_nc_u16 v0, v1, 3
	global_store_b8 v30, v0, s[8:9]
	s_or_b32 exec_lo, exec_lo, s31
	s_delay_alu instid0(SALU_CYCLE_1)
	s_mov_b32 s31, exec_lo
	v_cmpx_gt_i32_e64 s5, v3
	s_cbranch_execnz .LBB57_22
	s_branch .LBB57_23
.LBB57_37:                              ;   in Loop: Header=BB57_6 Depth=1
	v_mul_hi_u32 v4, s0, v20
	s_delay_alu instid0(VALU_DEP_1) | instskip(NEXT) | instid1(VALU_DEP_1)
	v_add_nc_u32_e32 v4, s23, v4
	v_add3_u32 v4, v7, s28, v4
	s_delay_alu instid0(VALU_DEP_1) | instskip(NEXT) | instid1(VALU_DEP_1)
	v_lshrrev_b32_e32 v4, s1, v4
	v_mul_lo_u32 v6, s7, v4
	v_mad_u64_u32 v[30:31], null, v0, s6, v[4:5]
	s_delay_alu instid0(VALU_DEP_2) | instskip(NEXT) | instid1(VALU_DEP_1)
	v_add3_u32 v6, v22, s28, v6
	v_add_nc_u16 v0, v6, 1
	global_store_b8 v30, v0, s[8:9]
	s_or_b32 exec_lo, exec_lo, s33
	s_delay_alu instid0(SALU_CYCLE_1)
	s_mov_b32 s33, exec_lo
	v_cmpx_gt_i32_e64 s5, v1
	s_cbranch_execz .LBB57_26
.LBB57_38:                              ;   in Loop: Header=BB57_6 Depth=1
	v_mul_hi_u32 v0, s0, v23
	s_delay_alu instid0(VALU_DEP_1) | instskip(NEXT) | instid1(VALU_DEP_1)
	v_add_nc_u32_e32 v0, s24, v0
	v_add3_u32 v0, v7, s28, v0
	s_delay_alu instid0(VALU_DEP_1) | instskip(NEXT) | instid1(VALU_DEP_1)
	v_lshrrev_b32_e32 v0, s1, v0
	v_mul_lo_u32 v4, s7, v0
	v_mad_u64_u32 v[30:31], null, v1, s6, v[0:1]
	s_delay_alu instid0(VALU_DEP_2) | instskip(NEXT) | instid1(VALU_DEP_1)
	v_add3_u32 v4, v22, s28, v4
	v_add_nc_u16 v0, v4, 2
	global_store_b8 v30, v0, s[8:9]
	s_or_b32 exec_lo, exec_lo, s33
	s_delay_alu instid0(SALU_CYCLE_1)
	s_mov_b32 s33, exec_lo
	v_cmpx_gt_i32_e64 s5, v2
	s_cbranch_execz .LBB57_27
.LBB57_39:                              ;   in Loop: Header=BB57_6 Depth=1
	v_mul_hi_u32 v0, s0, v24
	s_delay_alu instid0(VALU_DEP_1) | instskip(NEXT) | instid1(VALU_DEP_1)
	v_add_nc_u32_e32 v0, s25, v0
	v_add3_u32 v0, v7, s28, v0
	s_delay_alu instid0(VALU_DEP_1) | instskip(NEXT) | instid1(VALU_DEP_1)
	v_lshrrev_b32_e32 v0, s1, v0
	v_mul_lo_u32 v1, s7, v0
	s_delay_alu instid0(VALU_DEP_1) | instskip(NEXT) | instid1(VALU_DEP_1)
	v_add3_u32 v1, v22, s28, v1
	v_mad_u64_u32 v[30:31], null, v2, s6, v[0:1]
	v_add_nc_u16 v0, v1, 3
	global_store_b8 v30, v0, s[8:9]
	s_or_b32 exec_lo, exec_lo, s33
	s_delay_alu instid0(SALU_CYCLE_1)
	s_mov_b32 s33, exec_lo
	v_cmpx_gt_i32_e64 s5, v3
	s_cbranch_execz .LBB57_2
.LBB57_40:                              ;   in Loop: Header=BB57_6 Depth=1
	v_mul_hi_u32 v0, s0, v25
	s_delay_alu instid0(VALU_DEP_1) | instskip(NEXT) | instid1(VALU_DEP_1)
	v_add_nc_u32_e32 v0, s26, v0
	v_add3_u32 v0, v7, s28, v0
	s_delay_alu instid0(VALU_DEP_1) | instskip(NEXT) | instid1(VALU_DEP_1)
	v_lshrrev_b32_e32 v0, s1, v0
	v_mul_lo_u32 v1, s7, v0
	s_delay_alu instid0(VALU_DEP_1) | instskip(SKIP_1) | instid1(VALU_DEP_2)
	v_add3_u32 v4, v22, s28, v1
	v_mad_u64_u32 v[1:2], null, v3, s6, v[0:1]
	v_add_nc_u16 v0, v4, 4
	global_store_b8 v1, v0, s[8:9]
	s_branch .LBB57_2
.LBB57_41:
	s_nop 0
	s_sendmsg sendmsg(MSG_DEALLOC_VGPRS)
	s_endpgm
	.section	.rodata,"a",@progbits
	.p2align	6, 0x0
	.amdhsa_kernel _ZN5aiter22opus_moe_sorting_entryINS_32MoeSortingMultiPhaseKernel_P0_v1INS_19MoeSortingProblemMpIifhLi4ELb1ELb0ELb1EEEEENS4_5KargsEEEvT0_
		.amdhsa_group_segment_fixed_size 0
		.amdhsa_private_segment_fixed_size 0
		.amdhsa_kernarg_size 304
		.amdhsa_user_sgpr_count 15
		.amdhsa_user_sgpr_dispatch_ptr 0
		.amdhsa_user_sgpr_queue_ptr 0
		.amdhsa_user_sgpr_kernarg_segment_ptr 1
		.amdhsa_user_sgpr_dispatch_id 0
		.amdhsa_user_sgpr_private_segment_size 0
		.amdhsa_wavefront_size32 1
		.amdhsa_uses_dynamic_stack 0
		.amdhsa_enable_private_segment 0
		.amdhsa_system_sgpr_workgroup_id_x 1
		.amdhsa_system_sgpr_workgroup_id_y 0
		.amdhsa_system_sgpr_workgroup_id_z 0
		.amdhsa_system_sgpr_workgroup_info 0
		.amdhsa_system_vgpr_workitem_id 0
		.amdhsa_next_free_vgpr 33
		.amdhsa_next_free_sgpr 34
		.amdhsa_reserve_vcc 1
		.amdhsa_float_round_mode_32 0
		.amdhsa_float_round_mode_16_64 0
		.amdhsa_float_denorm_mode_32 3
		.amdhsa_float_denorm_mode_16_64 3
		.amdhsa_dx10_clamp 1
		.amdhsa_ieee_mode 1
		.amdhsa_fp16_overflow 0
		.amdhsa_workgroup_processor_mode 1
		.amdhsa_memory_ordered 1
		.amdhsa_forward_progress 0
		.amdhsa_shared_vgpr_count 0
		.amdhsa_exception_fp_ieee_invalid_op 0
		.amdhsa_exception_fp_denorm_src 0
		.amdhsa_exception_fp_ieee_div_zero 0
		.amdhsa_exception_fp_ieee_overflow 0
		.amdhsa_exception_fp_ieee_underflow 0
		.amdhsa_exception_fp_ieee_inexact 0
		.amdhsa_exception_int_div_zero 0
	.end_amdhsa_kernel
	.section	.text._ZN5aiter22opus_moe_sorting_entryINS_32MoeSortingMultiPhaseKernel_P0_v1INS_19MoeSortingProblemMpIifhLi4ELb1ELb0ELb1EEEEENS4_5KargsEEEvT0_,"axG",@progbits,_ZN5aiter22opus_moe_sorting_entryINS_32MoeSortingMultiPhaseKernel_P0_v1INS_19MoeSortingProblemMpIifhLi4ELb1ELb0ELb1EEEEENS4_5KargsEEEvT0_,comdat
.Lfunc_end57:
	.size	_ZN5aiter22opus_moe_sorting_entryINS_32MoeSortingMultiPhaseKernel_P0_v1INS_19MoeSortingProblemMpIifhLi4ELb1ELb0ELb1EEEEENS4_5KargsEEEvT0_, .Lfunc_end57-_ZN5aiter22opus_moe_sorting_entryINS_32MoeSortingMultiPhaseKernel_P0_v1INS_19MoeSortingProblemMpIifhLi4ELb1ELb0ELb1EEEEENS4_5KargsEEEvT0_
                                        ; -- End function
	.section	.AMDGPU.csdata,"",@progbits
; Kernel info:
; codeLenInByte = 2576
; NumSgprs: 36
; NumVgprs: 33
; ScratchSize: 0
; MemoryBound: 0
; FloatMode: 240
; IeeeMode: 1
; LDSByteSize: 0 bytes/workgroup (compile time only)
; SGPRBlocks: 4
; VGPRBlocks: 4
; NumSGPRsForWavesPerEU: 36
; NumVGPRsForWavesPerEU: 33
; Occupancy: 16
; WaveLimiterHint : 1
; COMPUTE_PGM_RSRC2:SCRATCH_EN: 0
; COMPUTE_PGM_RSRC2:USER_SGPR: 15
; COMPUTE_PGM_RSRC2:TRAP_HANDLER: 0
; COMPUTE_PGM_RSRC2:TGID_X_EN: 1
; COMPUTE_PGM_RSRC2:TGID_Y_EN: 0
; COMPUTE_PGM_RSRC2:TGID_Z_EN: 0
; COMPUTE_PGM_RSRC2:TIDIG_COMP_CNT: 0
	.section	.text._ZN5aiter22opus_moe_sorting_entryINS_29MoeSortingMultiPhaseKernel_P1INS_19MoeSortingProblemMpIifhLi16ELb1ELb0ELb1EEEEENS4_5KargsEEEvT0_,"axG",@progbits,_ZN5aiter22opus_moe_sorting_entryINS_29MoeSortingMultiPhaseKernel_P1INS_19MoeSortingProblemMpIifhLi16ELb1ELb0ELb1EEEEENS4_5KargsEEEvT0_,comdat
	.protected	_ZN5aiter22opus_moe_sorting_entryINS_29MoeSortingMultiPhaseKernel_P1INS_19MoeSortingProblemMpIifhLi16ELb1ELb0ELb1EEEEENS4_5KargsEEEvT0_ ; -- Begin function _ZN5aiter22opus_moe_sorting_entryINS_29MoeSortingMultiPhaseKernel_P1INS_19MoeSortingProblemMpIifhLi16ELb1ELb0ELb1EEEEENS4_5KargsEEEvT0_
	.globl	_ZN5aiter22opus_moe_sorting_entryINS_29MoeSortingMultiPhaseKernel_P1INS_19MoeSortingProblemMpIifhLi16ELb1ELb0ELb1EEEEENS4_5KargsEEEvT0_
	.p2align	8
	.type	_ZN5aiter22opus_moe_sorting_entryINS_29MoeSortingMultiPhaseKernel_P1INS_19MoeSortingProblemMpIifhLi16ELb1ELb0ELb1EEEEENS4_5KargsEEEvT0_,@function
_ZN5aiter22opus_moe_sorting_entryINS_29MoeSortingMultiPhaseKernel_P1INS_19MoeSortingProblemMpIifhLi16ELb1ELb0ELb1EEEEENS4_5KargsEEEvT0_: ; @_ZN5aiter22opus_moe_sorting_entryINS_29MoeSortingMultiPhaseKernel_P1INS_19MoeSortingProblemMpIifhLi16ELb1ELb0ELb1EEEEENS4_5KargsEEEvT0_
; %bb.0:
	s_load_b64 s[2:3], s[0:1], 0x0
	s_mov_b32 s6, s15
	s_ashr_i32 s7, s15, 31
	s_delay_alu instid0(SALU_CYCLE_1)
	s_lshl_b64 s[4:5], s[6:7], 2
	s_waitcnt lgkmcnt(0)
	s_add_u32 s2, s2, s4
	s_addc_u32 s3, s3, s5
	s_load_b32 s2, s[2:3], 0x0
	s_waitcnt lgkmcnt(0)
	s_cmp_eq_u32 s2, 0
	s_cbranch_scc1 .LBB58_10
; %bb.1:
	s_clause 0x1
	s_load_b32 s8, s[0:1], 0x20
	s_load_b128 s[0:3], s[0:1], 0x10
	v_mov_b32_e32 v7, 0
	s_waitcnt lgkmcnt(0)
	s_cmp_lt_i32 s8, 16
	s_cbranch_scc1 .LBB58_6
; %bb.2:
	s_ashr_i32 s7, s8, 31
	v_mbcnt_lo_u32_b32 v1, -1, 0
	s_lshr_b32 s7, s7, 28
	v_mov_b32_e32 v7, 0
	s_add_i32 s7, s8, s7
	s_mul_i32 s8, s8, s6
	s_ashr_i32 s7, s7, 4
	v_lshlrev_b32_e32 v1, 2, v1
	s_add_i32 s6, s7, 0xff
	s_ashr_i32 s9, s8, 31
	s_ashr_i32 s10, s6, 31
	v_mov_b32_e32 v13, v0
	s_lshr_b32 s10, s10, 24
	v_xor_b32_e32 v8, 4, v1
	s_add_i32 s6, s6, s10
	v_xor_b32_e32 v9, 8, v1
	v_xor_b32_e32 v10, 16, v1
	;; [unrolled: 1-line block ×3, first 2 shown]
	s_ashr_i32 s6, s6, 8
	v_xor_b32_e32 v12, 64, v1
	v_lshlrev_b32_e32 v1, 4, v0
	s_max_i32 s6, s6, 1
	s_add_u32 s0, s0, s8
	s_addc_u32 s1, s1, s9
	s_delay_alu instid0(VALU_DEP_1) | instskip(NEXT) | instid1(VALU_DEP_1)
	v_add_co_u32 v5, s0, s0, v1
	v_add_co_ci_u32_e64 v6, null, s1, 0, s0
	s_branch .LBB58_4
.LBB58_3:                               ;   in Loop: Header=BB58_4 Depth=1
	s_or_b32 exec_lo, exec_lo, s0
	s_waitcnt vmcnt(0)
	v_lshrrev_b32_e32 v14, 8, v1
	v_lshrrev_b32_e32 v15, 16, v1
	v_and_b32_e32 v18, 0xff, v1
	v_and_b32_e32 v19, 0xff, v2
	v_lshrrev_b32_e32 v1, 24, v1
	v_and_b32_e32 v14, 0xff, v14
	v_and_b32_e32 v15, 0xff, v15
	v_lshrrev_b32_e32 v17, 8, v2
	v_lshrrev_b32_e32 v16, 16, v2
	;; [unrolled: 1-line block ×3, first 2 shown]
	v_cmp_ne_u16_e32 vcc_lo, 0, v14
	v_add_nc_u32_e32 v13, 0x100, v13
	v_and_b32_e32 v17, 0xff, v17
	s_add_i32 s6, s6, -1
	s_delay_alu instid0(SALU_CYCLE_1) | instskip(SKIP_4) | instid1(VALU_DEP_4)
	s_cmp_eq_u32 s6, 0
	v_cndmask_b32_e64 v14, 0, 1, vcc_lo
	v_cmp_ne_u16_e32 vcc_lo, 0, v15
	v_cndmask_b32_e64 v15, 0, 1, vcc_lo
	v_cmp_ne_u16_e32 vcc_lo, 0, v18
	v_add_co_ci_u32_e32 v14, vcc_lo, 0, v14, vcc_lo
	v_cmp_ne_u16_e32 vcc_lo, 0, v19
	v_cndmask_b32_e64 v18, 0, 1, vcc_lo
	v_cmp_ne_u16_e32 vcc_lo, 0, v1
	s_delay_alu instid0(VALU_DEP_4)
	v_add_co_ci_u32_e32 v1, vcc_lo, v14, v15, vcc_lo
	v_cmp_ne_u16_e32 vcc_lo, 0, v17
	v_and_b32_e32 v14, 0xff, v16
	v_and_b32_e32 v15, 0xff, v3
	v_lshrrev_b32_e32 v16, 8, v3
	v_add_co_ci_u32_e32 v1, vcc_lo, v1, v18, vcc_lo
	s_delay_alu instid0(VALU_DEP_4) | instskip(SKIP_4) | instid1(VALU_DEP_4)
	v_cmp_ne_u16_e32 vcc_lo, 0, v14
	v_cndmask_b32_e64 v14, 0, 1, vcc_lo
	v_cmp_ne_u16_e32 vcc_lo, 0, v2
	v_lshrrev_b32_e32 v2, 16, v3
	v_lshrrev_b32_e32 v3, 24, v3
	v_add_co_ci_u32_e32 v1, vcc_lo, v1, v14, vcc_lo
	v_and_b32_e32 v14, 0xff, v16
	v_cmp_ne_u16_e32 vcc_lo, 0, v15
	v_and_b32_e32 v2, 0xff, v2
	v_lshrrev_b32_e32 v16, 16, v4
	v_cndmask_b32_e64 v15, 0, 1, vcc_lo
	v_cmp_ne_u16_e32 vcc_lo, 0, v14
	v_lshrrev_b32_e32 v14, 8, v4
	s_delay_alu instid0(VALU_DEP_3) | instskip(SKIP_4) | instid1(VALU_DEP_2)
	v_add_co_ci_u32_e32 v1, vcc_lo, v1, v15, vcc_lo
	v_cmp_ne_u16_e32 vcc_lo, 0, v2
	v_and_b32_e32 v15, 0xff, v4
	v_cndmask_b32_e64 v2, 0, 1, vcc_lo
	v_cmp_ne_u16_e32 vcc_lo, 0, v3
	v_add_co_ci_u32_e32 v1, vcc_lo, v1, v2, vcc_lo
	v_and_b32_e32 v2, 0xff, v14
	v_cmp_ne_u16_e32 vcc_lo, 0, v15
	v_and_b32_e32 v14, 0xff, v16
	v_cndmask_b32_e64 v3, 0, 1, vcc_lo
	s_delay_alu instid0(VALU_DEP_4) | instskip(SKIP_1) | instid1(VALU_DEP_3)
	v_cmp_ne_u16_e32 vcc_lo, 0, v2
	v_lshrrev_b32_e32 v2, 24, v4
	v_add_co_ci_u32_e32 v1, vcc_lo, v1, v3, vcc_lo
	v_cmp_ne_u16_e32 vcc_lo, 0, v14
	v_cndmask_b32_e64 v3, 0, 1, vcc_lo
	s_delay_alu instid0(VALU_DEP_4) | instskip(NEXT) | instid1(VALU_DEP_2)
	v_cmp_ne_u16_e32 vcc_lo, 0, v2
	v_add_co_ci_u32_e32 v1, vcc_lo, v1, v3, vcc_lo
	v_add_co_u32 v5, vcc_lo, 0x1000, v5
	v_add_co_ci_u32_e32 v6, vcc_lo, 0, v6, vcc_lo
	ds_bpermute_b32 v2, v8, v1
	s_waitcnt lgkmcnt(0)
	v_add_nc_u32_e32 v1, v1, v2
	ds_bpermute_b32 v2, v9, v1
	s_waitcnt lgkmcnt(0)
	v_add_nc_u32_e32 v1, v1, v2
	;; [unrolled: 3-line block ×4, first 2 shown]
	ds_bpermute_b32 v2, v12, v1
	s_waitcnt lgkmcnt(0)
	v_add3_u32 v7, v2, v7, v1
	s_cbranch_scc1 .LBB58_6
.LBB58_4:                               ; =>This Inner Loop Header: Depth=1
	v_dual_mov_b32 v1, 0 :: v_dual_mov_b32 v2, 0
	v_dual_mov_b32 v3, 0 :: v_dual_mov_b32 v4, 0
	s_mov_b32 s0, exec_lo
	v_cmpx_gt_i32_e64 s7, v13
	s_cbranch_execz .LBB58_3
; %bb.5:                                ;   in Loop: Header=BB58_4 Depth=1
	global_load_b128 v[1:4], v[5:6], off
	s_branch .LBB58_3
.LBB58_6:
	v_and_b32_e32 v1, 31, v0
	s_mov_b32 s0, exec_lo
	s_delay_alu instid0(VALU_DEP_1)
	v_cmpx_eq_u32_e32 0, v1
	s_cbranch_execz .LBB58_8
; %bb.7:
	v_lshrrev_b32_e32 v1, 3, v0
	ds_store_b32 v1, v7
.LBB58_8:
	s_or_b32 exec_lo, exec_lo, s0
	s_waitcnt lgkmcnt(0)
	s_barrier
	buffer_gl0_inv
	s_mov_b32 s0, exec_lo
	v_cmpx_eq_u32_e32 0, v0
	s_cbranch_execz .LBB58_10
; %bb.9:
	v_mov_b32_e32 v8, 0
	s_add_u32 s0, s2, s4
	s_addc_u32 s1, s3, s5
	ds_load_b128 v[0:3], v8
	ds_load_b128 v[4:7], v8 offset:16
	s_waitcnt lgkmcnt(1)
	v_add_nc_u32_e32 v0, v1, v0
	s_delay_alu instid0(VALU_DEP_1) | instskip(NEXT) | instid1(VALU_DEP_1)
	v_add_nc_u32_e32 v0, v0, v2
	v_add_nc_u32_e32 v0, v0, v3
	s_waitcnt lgkmcnt(0)
	s_delay_alu instid0(VALU_DEP_1) | instskip(NEXT) | instid1(VALU_DEP_1)
	v_add_nc_u32_e32 v0, v0, v4
	v_add_nc_u32_e32 v0, v0, v5
	s_delay_alu instid0(VALU_DEP_1) | instskip(NEXT) | instid1(VALU_DEP_1)
	v_add_nc_u32_e32 v0, v0, v6
	v_add_nc_u32_e32 v0, v0, v7
	global_store_b32 v8, v0, s[0:1]
.LBB58_10:
	s_nop 0
	s_sendmsg sendmsg(MSG_DEALLOC_VGPRS)
	s_endpgm
	.section	.rodata,"a",@progbits
	.p2align	6, 0x0
	.amdhsa_kernel _ZN5aiter22opus_moe_sorting_entryINS_29MoeSortingMultiPhaseKernel_P1INS_19MoeSortingProblemMpIifhLi16ELb1ELb0ELb1EEEEENS4_5KargsEEEvT0_
		.amdhsa_group_segment_fixed_size 32
		.amdhsa_private_segment_fixed_size 0
		.amdhsa_kernarg_size 40
		.amdhsa_user_sgpr_count 15
		.amdhsa_user_sgpr_dispatch_ptr 0
		.amdhsa_user_sgpr_queue_ptr 0
		.amdhsa_user_sgpr_kernarg_segment_ptr 1
		.amdhsa_user_sgpr_dispatch_id 0
		.amdhsa_user_sgpr_private_segment_size 0
		.amdhsa_wavefront_size32 1
		.amdhsa_uses_dynamic_stack 0
		.amdhsa_enable_private_segment 0
		.amdhsa_system_sgpr_workgroup_id_x 1
		.amdhsa_system_sgpr_workgroup_id_y 0
		.amdhsa_system_sgpr_workgroup_id_z 0
		.amdhsa_system_sgpr_workgroup_info 0
		.amdhsa_system_vgpr_workitem_id 0
		.amdhsa_next_free_vgpr 20
		.amdhsa_next_free_sgpr 16
		.amdhsa_reserve_vcc 1
		.amdhsa_float_round_mode_32 0
		.amdhsa_float_round_mode_16_64 0
		.amdhsa_float_denorm_mode_32 3
		.amdhsa_float_denorm_mode_16_64 3
		.amdhsa_dx10_clamp 1
		.amdhsa_ieee_mode 1
		.amdhsa_fp16_overflow 0
		.amdhsa_workgroup_processor_mode 1
		.amdhsa_memory_ordered 1
		.amdhsa_forward_progress 0
		.amdhsa_shared_vgpr_count 0
		.amdhsa_exception_fp_ieee_invalid_op 0
		.amdhsa_exception_fp_denorm_src 0
		.amdhsa_exception_fp_ieee_div_zero 0
		.amdhsa_exception_fp_ieee_overflow 0
		.amdhsa_exception_fp_ieee_underflow 0
		.amdhsa_exception_fp_ieee_inexact 0
		.amdhsa_exception_int_div_zero 0
	.end_amdhsa_kernel
	.section	.text._ZN5aiter22opus_moe_sorting_entryINS_29MoeSortingMultiPhaseKernel_P1INS_19MoeSortingProblemMpIifhLi16ELb1ELb0ELb1EEEEENS4_5KargsEEEvT0_,"axG",@progbits,_ZN5aiter22opus_moe_sorting_entryINS_29MoeSortingMultiPhaseKernel_P1INS_19MoeSortingProblemMpIifhLi16ELb1ELb0ELb1EEEEENS4_5KargsEEEvT0_,comdat
.Lfunc_end58:
	.size	_ZN5aiter22opus_moe_sorting_entryINS_29MoeSortingMultiPhaseKernel_P1INS_19MoeSortingProblemMpIifhLi16ELb1ELb0ELb1EEEEENS4_5KargsEEEvT0_, .Lfunc_end58-_ZN5aiter22opus_moe_sorting_entryINS_29MoeSortingMultiPhaseKernel_P1INS_19MoeSortingProblemMpIifhLi16ELb1ELb0ELb1EEEEENS4_5KargsEEEvT0_
                                        ; -- End function
	.section	.AMDGPU.csdata,"",@progbits
; Kernel info:
; codeLenInByte = 880
; NumSgprs: 18
; NumVgprs: 20
; ScratchSize: 0
; MemoryBound: 0
; FloatMode: 240
; IeeeMode: 1
; LDSByteSize: 32 bytes/workgroup (compile time only)
; SGPRBlocks: 2
; VGPRBlocks: 2
; NumSGPRsForWavesPerEU: 18
; NumVGPRsForWavesPerEU: 20
; Occupancy: 16
; WaveLimiterHint : 0
; COMPUTE_PGM_RSRC2:SCRATCH_EN: 0
; COMPUTE_PGM_RSRC2:USER_SGPR: 15
; COMPUTE_PGM_RSRC2:TRAP_HANDLER: 0
; COMPUTE_PGM_RSRC2:TGID_X_EN: 1
; COMPUTE_PGM_RSRC2:TGID_Y_EN: 0
; COMPUTE_PGM_RSRC2:TGID_Z_EN: 0
; COMPUTE_PGM_RSRC2:TIDIG_COMP_CNT: 0
	.section	.text._ZN5aiter22opus_moe_sorting_entryINS_32MoeSortingMultiPhaseKernel_P0_v1INS_19MoeSortingProblemMpIifhLi4ELb0ELb1ELb1EEEEENS4_5KargsEEEvT0_,"axG",@progbits,_ZN5aiter22opus_moe_sorting_entryINS_32MoeSortingMultiPhaseKernel_P0_v1INS_19MoeSortingProblemMpIifhLi4ELb0ELb1ELb1EEEEENS4_5KargsEEEvT0_,comdat
	.protected	_ZN5aiter22opus_moe_sorting_entryINS_32MoeSortingMultiPhaseKernel_P0_v1INS_19MoeSortingProblemMpIifhLi4ELb0ELb1ELb1EEEEENS4_5KargsEEEvT0_ ; -- Begin function _ZN5aiter22opus_moe_sorting_entryINS_32MoeSortingMultiPhaseKernel_P0_v1INS_19MoeSortingProblemMpIifhLi4ELb0ELb1ELb1EEEEENS4_5KargsEEEvT0_
	.globl	_ZN5aiter22opus_moe_sorting_entryINS_32MoeSortingMultiPhaseKernel_P0_v1INS_19MoeSortingProblemMpIifhLi4ELb0ELb1ELb1EEEEENS4_5KargsEEEvT0_
	.p2align	8
	.type	_ZN5aiter22opus_moe_sorting_entryINS_32MoeSortingMultiPhaseKernel_P0_v1INS_19MoeSortingProblemMpIifhLi4ELb0ELb1ELb1EEEEENS4_5KargsEEEvT0_,@function
_ZN5aiter22opus_moe_sorting_entryINS_32MoeSortingMultiPhaseKernel_P0_v1INS_19MoeSortingProblemMpIifhLi4ELb0ELb1ELb1EEEEENS4_5KargsEEEvT0_: ; @_ZN5aiter22opus_moe_sorting_entryINS_32MoeSortingMultiPhaseKernel_P0_v1INS_19MoeSortingProblemMpIifhLi4ELb0ELb1ELb1EEEEENS4_5KargsEEEvT0_
; %bb.0:
	s_clause 0x1
	s_load_b128 s[4:7], s[0:1], 0x0
	s_load_b32 s11, s[0:1], 0x24
	s_lshl_b32 s21, s15, 8
	s_delay_alu instid0(SALU_CYCLE_1) | instskip(SKIP_4) | instid1(SALU_CYCLE_1)
	v_add_nc_u32_e32 v4, s21, v0
	s_waitcnt lgkmcnt(0)
	s_load_b32 s8, s[6:7], 0x0
	s_waitcnt lgkmcnt(0)
	s_add_i32 s2, s8, 3
	s_ashr_i32 s3, s2, 31
	s_delay_alu instid0(SALU_CYCLE_1) | instskip(NEXT) | instid1(SALU_CYCLE_1)
	s_lshr_b32 s3, s3, 30
	s_add_i32 s2, s2, s3
	s_delay_alu instid0(SALU_CYCLE_1) | instskip(NEXT) | instid1(SALU_CYCLE_1)
	s_lshr_b32 s2, s2, 2
	s_mul_i32 s9, s11, s2
	s_mov_b32 s2, exec_lo
	s_and_not1_b32 s9, s9, -2.0
	s_delay_alu instid0(SALU_CYCLE_1)
	v_cmpx_gt_i32_e64 s9, v4
	s_cbranch_execz .LBB59_41
; %bb.1:
	s_clause 0x3
	s_load_b32 s25, s[0:1], 0x30
	s_load_b64 s[2:3], s[0:1], 0x10
	s_load_b32 s10, s[0:1], 0x1c
	s_load_b64 s[6:7], s[0:1], 0x28
	v_lshlrev_b32_e32 v1, 2, v0
	s_lshl_b32 s26, s15, 10
	s_add_i32 s0, s8, 31
	s_mov_b32 s1, 0
	s_ashr_i32 s12, s0, 31
	v_add_nc_u32_e32 v7, s26, v1
	s_lshr_b32 s12, s12, 27
	s_sub_i32 s11, 0, s11
	s_add_i32 s12, s0, s12
	s_mov_b32 s30, 0
	v_or_b32_e32 v23, 2, v7
	s_and_not1_b32 s12, s12, 31
	s_delay_alu instid0(VALU_DEP_1)
	v_mov_b32_e32 v28, v23
	s_waitcnt lgkmcnt(0)
	s_mul_i32 s16, s25, 0x300
	s_lshl_b32 s18, s25, 9
	s_add_i32 s0, s21, s16
	s_lshl_b32 s13, s25, 8
	v_add_lshl_u32 v9, s0, v0, 2
	s_add_i32 s0, s21, s18
	v_add_lshl_u32 v17, v4, s13, 2
	v_add_lshl_u32 v10, s0, v0, 2
	v_or_b32_e32 v22, 1, v7
	v_or_b32_e32 v24, 3, v7
	s_mul_i32 s14, s25, 0xc00
	s_lshl_b32 s15, s25, 12
	s_lshl_b32 s17, s25, 11
	s_lshl_b32 s25, s25, 10
	v_or_b32_e32 v11, 3, v9
	v_or_b32_e32 v12, 2, v9
	;; [unrolled: 1-line block ×9, first 2 shown]
	v_mov_b32_e32 v26, v7
	v_add3_u32 v8, s14, s26, v1
	v_add3_u32 v14, s17, s26, v1
	;; [unrolled: 1-line block ×3, first 2 shown]
	v_mov_b32_e32 v27, v22
	v_mov_b32_e32 v29, v24
	s_or_b32 s19, s14, 3
	s_or_b32 s20, s14, 2
	;; [unrolled: 1-line block ×9, first 2 shown]
	s_add_i32 s29, s13, s13
	s_branch .LBB59_6
.LBB59_2:                               ;   in Loop: Header=BB59_6 Depth=1
	s_or_b32 exec_lo, exec_lo, s0
	v_add3_u32 v4, s29, s13, v5
	v_add_nc_u32_e32 v11, s15, v11
	v_add_nc_u32_e32 v12, s15, v12
	;; [unrolled: 1-line block ×4, first 2 shown]
	v_cmp_le_i32_e32 vcc_lo, s9, v4
	v_add_nc_u32_e32 v15, s15, v15
	v_add_nc_u32_e32 v16, s15, v16
	;; [unrolled: 1-line block ×12, first 2 shown]
	s_add_i32 s30, s30, s15
	s_or_not1_b32 s0, vcc_lo, exec_lo
.LBB59_3:                               ;   in Loop: Header=BB59_6 Depth=1
	s_or_b32 exec_lo, exec_lo, s34
	s_delay_alu instid0(SALU_CYCLE_1)
	s_or_not1_b32 s0, s0, exec_lo
.LBB59_4:                               ;   in Loop: Header=BB59_6 Depth=1
	s_or_b32 exec_lo, exec_lo, s33
	s_delay_alu instid0(SALU_CYCLE_1)
	s_or_not1_b32 s0, s0, exec_lo
.LBB59_5:                               ;   in Loop: Header=BB59_6 Depth=1
	s_or_b32 exec_lo, exec_lo, s31
	s_delay_alu instid0(SALU_CYCLE_1) | instskip(NEXT) | instid1(SALU_CYCLE_1)
	s_and_b32 s0, exec_lo, s0
	s_or_b32 s1, s0, s1
	s_delay_alu instid0(SALU_CYCLE_1)
	s_and_not1_b32 exec_lo, exec_lo, s1
	s_cbranch_execz .LBB59_41
.LBB59_6:                               ; =>This Inner Loop Header: Depth=1
	v_ashrrev_i32_e32 v5, 31, v4
	s_delay_alu instid0(VALU_DEP_1) | instskip(SKIP_1) | instid1(VALU_DEP_2)
	v_lshlrev_b64 v[0:1], 4, v[4:5]
	v_mul_hi_u32 v5, s6, v26
	v_add_co_u32 v0, vcc_lo, s4, v0
	s_delay_alu instid0(VALU_DEP_3) | instskip(NEXT) | instid1(VALU_DEP_3)
	v_add_co_ci_u32_e32 v1, vcc_lo, s5, v1, vcc_lo
	v_add3_u32 v5, v7, v5, s30
	global_load_b128 v[0:3], v[0:1], off
	v_lshrrev_b32_e32 v5, s7, v5
	s_delay_alu instid0(VALU_DEP_1) | instskip(SKIP_2) | instid1(VALU_DEP_2)
	v_cmp_gt_i32_e64 s0, s8, v5
	s_waitcnt vmcnt(0)
	v_cmp_gt_i32_e32 vcc_lo, s10, v0
	s_and_b32 s31, vcc_lo, s0
	s_delay_alu instid0(SALU_CYCLE_1)
	s_and_saveexec_b32 s0, s31
	s_cbranch_execz .LBB59_8
; %bb.7:                                ;   in Loop: Header=BB59_6 Depth=1
	v_mul_lo_u32 v6, s11, v5
	s_delay_alu instid0(VALU_DEP_1) | instskip(NEXT) | instid1(VALU_DEP_1)
	v_add3_u32 v6, v7, s30, v6
	v_mad_u64_u32 v[30:31], null, v0, s12, v[5:6]
	v_add_nc_u16 v0, v6, 1
	global_store_b8 v30, v0, s[2:3]
.LBB59_8:                               ;   in Loop: Header=BB59_6 Depth=1
	s_or_b32 exec_lo, exec_lo, s0
	v_mul_hi_u32 v0, s6, v27
	v_cmp_gt_i32_e32 vcc_lo, s10, v1
	s_delay_alu instid0(VALU_DEP_2) | instskip(NEXT) | instid1(VALU_DEP_1)
	v_add3_u32 v0, v22, v0, s30
	v_lshrrev_b32_e32 v0, s7, v0
	s_delay_alu instid0(VALU_DEP_1) | instskip(NEXT) | instid1(VALU_DEP_1)
	v_cmp_gt_i32_e64 s0, s8, v0
	s_and_b32 s31, vcc_lo, s0
	s_delay_alu instid0(SALU_CYCLE_1)
	s_and_saveexec_b32 s0, s31
	s_cbranch_execz .LBB59_10
; %bb.9:                                ;   in Loop: Header=BB59_6 Depth=1
	v_mul_lo_u32 v5, s11, v0
	s_delay_alu instid0(VALU_DEP_1) | instskip(SKIP_1) | instid1(VALU_DEP_2)
	v_add3_u32 v30, v7, s30, v5
	v_mad_u64_u32 v[5:6], null, v1, s12, v[0:1]
	v_add_nc_u16 v0, v30, 2
	global_store_b8 v5, v0, s[2:3]
.LBB59_10:                              ;   in Loop: Header=BB59_6 Depth=1
	s_or_b32 exec_lo, exec_lo, s0
	v_mul_hi_u32 v0, s6, v28
	v_cmp_gt_i32_e32 vcc_lo, s10, v2
	s_delay_alu instid0(VALU_DEP_2) | instskip(NEXT) | instid1(VALU_DEP_1)
	v_add3_u32 v0, v23, v0, s30
	v_lshrrev_b32_e32 v0, s7, v0
	s_delay_alu instid0(VALU_DEP_1) | instskip(NEXT) | instid1(VALU_DEP_1)
	v_cmp_gt_i32_e64 s0, s8, v0
	s_and_b32 s31, vcc_lo, s0
	s_delay_alu instid0(SALU_CYCLE_1)
	s_and_saveexec_b32 s0, s31
	s_cbranch_execz .LBB59_12
; %bb.11:                               ;   in Loop: Header=BB59_6 Depth=1
	v_mul_lo_u32 v1, s11, v0
	s_delay_alu instid0(VALU_DEP_1) | instskip(NEXT) | instid1(VALU_DEP_1)
	v_add3_u32 v1, v7, s30, v1
	v_mad_u64_u32 v[5:6], null, v2, s12, v[0:1]
	v_add_nc_u16 v0, v1, 3
	global_store_b8 v5, v0, s[2:3]
.LBB59_12:                              ;   in Loop: Header=BB59_6 Depth=1
	s_or_b32 exec_lo, exec_lo, s0
	v_mul_hi_u32 v0, s6, v29
	v_cmp_gt_i32_e32 vcc_lo, s10, v3
	s_delay_alu instid0(VALU_DEP_2) | instskip(NEXT) | instid1(VALU_DEP_1)
	v_add3_u32 v0, v24, v0, s30
	v_lshrrev_b32_e32 v0, s7, v0
	s_delay_alu instid0(VALU_DEP_1) | instskip(NEXT) | instid1(VALU_DEP_1)
	v_cmp_gt_i32_e64 s0, s8, v0
	s_and_b32 s31, vcc_lo, s0
	s_delay_alu instid0(SALU_CYCLE_1)
	s_and_saveexec_b32 s0, s31
	s_cbranch_execz .LBB59_14
; %bb.13:                               ;   in Loop: Header=BB59_6 Depth=1
	v_mul_lo_u32 v1, s11, v0
	s_delay_alu instid0(VALU_DEP_1) | instskip(SKIP_1) | instid1(VALU_DEP_2)
	v_add3_u32 v5, v7, s30, v1
	v_mad_u64_u32 v[1:2], null, v3, s12, v[0:1]
	v_add_nc_u16 v0, v5, 4
	global_store_b8 v1, v0, s[2:3]
.LBB59_14:                              ;   in Loop: Header=BB59_6 Depth=1
	s_or_b32 exec_lo, exec_lo, s0
	v_add_nc_u32_e32 v5, s13, v4
	s_mov_b32 s0, -1
	s_mov_b32 s31, exec_lo
	s_delay_alu instid0(VALU_DEP_1)
	v_cmpx_gt_i32_e64 s9, v5
	s_cbranch_execz .LBB59_5
; %bb.15:                               ;   in Loop: Header=BB59_6 Depth=1
	v_ashrrev_i32_e32 v6, 31, v5
	v_add_nc_u32_e32 v30, s30, v7
	s_delay_alu instid0(VALU_DEP_2) | instskip(SKIP_1) | instid1(VALU_DEP_2)
	v_lshlrev_b64 v[0:1], 4, v[5:6]
	v_mul_hi_u32 v6, s6, v17
	v_add_co_u32 v0, vcc_lo, s4, v0
	s_delay_alu instid0(VALU_DEP_3) | instskip(NEXT) | instid1(VALU_DEP_3)
	v_add_co_ci_u32_e32 v1, vcc_lo, s5, v1, vcc_lo
	v_add3_u32 v6, s25, v6, v30
	global_load_b128 v[0:3], v[0:1], off
	v_lshrrev_b32_e32 v6, s7, v6
	s_delay_alu instid0(VALU_DEP_1) | instskip(SKIP_2) | instid1(VALU_DEP_2)
	v_cmp_gt_i32_e64 s0, s8, v6
	s_waitcnt vmcnt(0)
	v_cmp_gt_i32_e32 vcc_lo, s10, v0
	s_and_b32 s33, vcc_lo, s0
	s_delay_alu instid0(SALU_CYCLE_1)
	s_and_saveexec_b32 s0, s33
	s_cbranch_execz .LBB59_17
; %bb.16:                               ;   in Loop: Header=BB59_6 Depth=1
	v_mul_lo_u32 v31, s11, v6
	s_delay_alu instid0(VALU_DEP_1) | instskip(SKIP_1) | instid1(VALU_DEP_2)
	v_add3_u32 v33, v19, s30, v31
	v_mad_u64_u32 v[31:32], null, v0, s12, v[6:7]
	v_add_nc_u16 v0, v33, 1
	global_store_b8 v31, v0, s[2:3]
.LBB59_17:                              ;   in Loop: Header=BB59_6 Depth=1
	s_or_b32 exec_lo, exec_lo, s0
	v_mul_hi_u32 v0, s6, v25
	v_cmp_gt_i32_e32 vcc_lo, s10, v1
	s_delay_alu instid0(VALU_DEP_2) | instskip(NEXT) | instid1(VALU_DEP_1)
	v_add3_u32 v0, s28, v0, v30
	v_lshrrev_b32_e32 v0, s7, v0
	s_delay_alu instid0(VALU_DEP_1) | instskip(NEXT) | instid1(VALU_DEP_1)
	v_cmp_gt_i32_e64 s0, s8, v0
	s_and_b32 s33, vcc_lo, s0
	s_delay_alu instid0(SALU_CYCLE_1)
	s_and_saveexec_b32 s0, s33
	s_cbranch_execz .LBB59_19
; %bb.18:                               ;   in Loop: Header=BB59_6 Depth=1
	v_mul_lo_u32 v6, s11, v0
	v_mad_u64_u32 v[31:32], null, v1, s12, v[0:1]
	s_delay_alu instid0(VALU_DEP_2) | instskip(NEXT) | instid1(VALU_DEP_1)
	v_add3_u32 v6, v19, s30, v6
	v_add_nc_u16 v0, v6, 2
	global_store_b8 v31, v0, s[2:3]
.LBB59_19:                              ;   in Loop: Header=BB59_6 Depth=1
	s_or_b32 exec_lo, exec_lo, s0
	v_mul_hi_u32 v0, s6, v21
	v_cmp_gt_i32_e32 vcc_lo, s10, v2
	s_delay_alu instid0(VALU_DEP_2) | instskip(NEXT) | instid1(VALU_DEP_1)
	v_add3_u32 v0, s27, v0, v30
	v_lshrrev_b32_e32 v0, s7, v0
	s_delay_alu instid0(VALU_DEP_1) | instskip(NEXT) | instid1(VALU_DEP_1)
	v_cmp_gt_i32_e64 s0, s8, v0
	s_and_b32 s33, vcc_lo, s0
	s_delay_alu instid0(SALU_CYCLE_1)
	s_and_saveexec_b32 s0, s33
	s_cbranch_execz .LBB59_21
; %bb.20:                               ;   in Loop: Header=BB59_6 Depth=1
	v_mul_lo_u32 v1, s11, v0
	s_delay_alu instid0(VALU_DEP_1) | instskip(NEXT) | instid1(VALU_DEP_1)
	v_add3_u32 v1, v19, s30, v1
	v_mad_u64_u32 v[31:32], null, v2, s12, v[0:1]
	v_add_nc_u16 v0, v1, 3
	global_store_b8 v31, v0, s[2:3]
.LBB59_21:                              ;   in Loop: Header=BB59_6 Depth=1
	s_or_b32 exec_lo, exec_lo, s0
	v_mul_hi_u32 v0, s6, v20
	v_cmp_gt_i32_e32 vcc_lo, s10, v3
	s_delay_alu instid0(VALU_DEP_2) | instskip(NEXT) | instid1(VALU_DEP_1)
	v_add3_u32 v0, s26, v0, v30
	v_lshrrev_b32_e32 v0, s7, v0
	s_delay_alu instid0(VALU_DEP_1) | instskip(NEXT) | instid1(VALU_DEP_1)
	v_cmp_gt_i32_e64 s0, s8, v0
	s_and_b32 s33, vcc_lo, s0
	s_delay_alu instid0(SALU_CYCLE_1)
	s_and_saveexec_b32 s0, s33
	s_cbranch_execz .LBB59_23
; %bb.22:                               ;   in Loop: Header=BB59_6 Depth=1
	v_mul_lo_u32 v1, s11, v0
	s_delay_alu instid0(VALU_DEP_1) | instskip(SKIP_1) | instid1(VALU_DEP_2)
	v_add3_u32 v6, v19, s30, v1
	v_mad_u64_u32 v[1:2], null, v3, s12, v[0:1]
	v_add_nc_u16 v0, v6, 4
	global_store_b8 v1, v0, s[2:3]
.LBB59_23:                              ;   in Loop: Header=BB59_6 Depth=1
	s_or_b32 exec_lo, exec_lo, s0
	v_add_nc_u32_e32 v0, s18, v4
	s_mov_b32 s0, -1
	s_mov_b32 s33, exec_lo
	s_delay_alu instid0(VALU_DEP_1)
	v_cmpx_gt_i32_e64 s9, v0
	s_cbranch_execz .LBB59_4
; %bb.24:                               ;   in Loop: Header=BB59_6 Depth=1
	v_ashrrev_i32_e32 v1, 31, v0
	v_mul_hi_u32 v6, s6, v10
	s_delay_alu instid0(VALU_DEP_2) | instskip(NEXT) | instid1(VALU_DEP_2)
	v_lshlrev_b64 v[0:1], 4, v[0:1]
	v_add3_u32 v6, s17, v6, v30
	s_delay_alu instid0(VALU_DEP_2) | instskip(NEXT) | instid1(VALU_DEP_3)
	v_add_co_u32 v0, vcc_lo, s4, v0
	v_add_co_ci_u32_e32 v1, vcc_lo, s5, v1, vcc_lo
	s_delay_alu instid0(VALU_DEP_3) | instskip(SKIP_4) | instid1(VALU_DEP_2)
	v_lshrrev_b32_e32 v6, s7, v6
	global_load_b128 v[0:3], v[0:1], off
	v_cmp_gt_i32_e64 s0, s8, v6
	s_waitcnt vmcnt(0)
	v_cmp_gt_i32_e32 vcc_lo, s10, v0
	s_and_b32 s34, vcc_lo, s0
	s_delay_alu instid0(SALU_CYCLE_1)
	s_and_saveexec_b32 s0, s34
	s_cbranch_execz .LBB59_26
; %bb.25:                               ;   in Loop: Header=BB59_6 Depth=1
	v_mul_lo_u32 v31, s11, v6
	s_delay_alu instid0(VALU_DEP_1) | instskip(SKIP_1) | instid1(VALU_DEP_2)
	v_add3_u32 v33, v14, s30, v31
	v_mad_u64_u32 v[31:32], null, v0, s12, v[6:7]
	v_add_nc_u16 v0, v33, 1
	global_store_b8 v31, v0, s[2:3]
.LBB59_26:                              ;   in Loop: Header=BB59_6 Depth=1
	s_or_b32 exec_lo, exec_lo, s0
	v_mul_hi_u32 v0, s6, v18
	v_cmp_gt_i32_e32 vcc_lo, s10, v1
	s_delay_alu instid0(VALU_DEP_2) | instskip(NEXT) | instid1(VALU_DEP_1)
	v_add3_u32 v0, s24, v0, v30
	v_lshrrev_b32_e32 v0, s7, v0
	s_delay_alu instid0(VALU_DEP_1) | instskip(NEXT) | instid1(VALU_DEP_1)
	v_cmp_gt_i32_e64 s0, s8, v0
	s_and_b32 s34, vcc_lo, s0
	s_delay_alu instid0(SALU_CYCLE_1)
	s_and_saveexec_b32 s0, s34
	s_cbranch_execz .LBB59_28
; %bb.27:                               ;   in Loop: Header=BB59_6 Depth=1
	v_mul_lo_u32 v6, s11, v0
	v_mad_u64_u32 v[31:32], null, v1, s12, v[0:1]
	s_delay_alu instid0(VALU_DEP_2) | instskip(NEXT) | instid1(VALU_DEP_1)
	v_add3_u32 v6, v14, s30, v6
	v_add_nc_u16 v0, v6, 2
	global_store_b8 v31, v0, s[2:3]
.LBB59_28:                              ;   in Loop: Header=BB59_6 Depth=1
	s_or_b32 exec_lo, exec_lo, s0
	v_mul_hi_u32 v0, s6, v16
	v_cmp_gt_i32_e32 vcc_lo, s10, v2
	s_delay_alu instid0(VALU_DEP_2) | instskip(NEXT) | instid1(VALU_DEP_1)
	v_add3_u32 v0, s23, v0, v30
	v_lshrrev_b32_e32 v0, s7, v0
	s_delay_alu instid0(VALU_DEP_1) | instskip(NEXT) | instid1(VALU_DEP_1)
	v_cmp_gt_i32_e64 s0, s8, v0
	s_and_b32 s34, vcc_lo, s0
	s_delay_alu instid0(SALU_CYCLE_1)
	s_and_saveexec_b32 s0, s34
	s_cbranch_execz .LBB59_30
; %bb.29:                               ;   in Loop: Header=BB59_6 Depth=1
	v_mul_lo_u32 v1, s11, v0
	s_delay_alu instid0(VALU_DEP_1) | instskip(NEXT) | instid1(VALU_DEP_1)
	v_add3_u32 v1, v14, s30, v1
	v_mad_u64_u32 v[31:32], null, v2, s12, v[0:1]
	v_add_nc_u16 v0, v1, 3
	global_store_b8 v31, v0, s[2:3]
.LBB59_30:                              ;   in Loop: Header=BB59_6 Depth=1
	s_or_b32 exec_lo, exec_lo, s0
	v_mul_hi_u32 v0, s6, v15
	v_cmp_gt_i32_e32 vcc_lo, s10, v3
	s_delay_alu instid0(VALU_DEP_2) | instskip(NEXT) | instid1(VALU_DEP_1)
	v_add3_u32 v0, s22, v0, v30
	v_lshrrev_b32_e32 v0, s7, v0
	s_delay_alu instid0(VALU_DEP_1) | instskip(NEXT) | instid1(VALU_DEP_1)
	v_cmp_gt_i32_e64 s0, s8, v0
	s_and_b32 s34, vcc_lo, s0
	s_delay_alu instid0(SALU_CYCLE_1)
	s_and_saveexec_b32 s0, s34
	s_cbranch_execz .LBB59_32
; %bb.31:                               ;   in Loop: Header=BB59_6 Depth=1
	v_mul_lo_u32 v1, s11, v0
	s_delay_alu instid0(VALU_DEP_1) | instskip(SKIP_1) | instid1(VALU_DEP_2)
	v_add3_u32 v6, v14, s30, v1
	v_mad_u64_u32 v[1:2], null, v3, s12, v[0:1]
	v_add_nc_u16 v0, v6, 4
	global_store_b8 v1, v0, s[2:3]
.LBB59_32:                              ;   in Loop: Header=BB59_6 Depth=1
	s_or_b32 exec_lo, exec_lo, s0
	v_add_nc_u32_e32 v0, s16, v4
	s_mov_b32 s0, -1
	s_mov_b32 s34, exec_lo
                                        ; implicit-def: $vgpr4
	s_delay_alu instid0(VALU_DEP_1)
	v_cmpx_gt_i32_e64 s9, v0
	s_cbranch_execz .LBB59_3
; %bb.33:                               ;   in Loop: Header=BB59_6 Depth=1
	v_ashrrev_i32_e32 v1, 31, v0
	v_mul_hi_u32 v4, s6, v9
	s_delay_alu instid0(VALU_DEP_2) | instskip(NEXT) | instid1(VALU_DEP_2)
	v_lshlrev_b64 v[0:1], 4, v[0:1]
	v_add3_u32 v4, s14, v4, v30
	s_delay_alu instid0(VALU_DEP_2) | instskip(NEXT) | instid1(VALU_DEP_3)
	v_add_co_u32 v0, vcc_lo, s4, v0
	v_add_co_ci_u32_e32 v1, vcc_lo, s5, v1, vcc_lo
	s_delay_alu instid0(VALU_DEP_3) | instskip(SKIP_4) | instid1(VALU_DEP_2)
	v_lshrrev_b32_e32 v4, s7, v4
	global_load_b128 v[0:3], v[0:1], off
	v_cmp_gt_i32_e64 s0, s8, v4
	s_waitcnt vmcnt(0)
	v_cmp_gt_i32_e32 vcc_lo, s10, v0
	s_and_b32 s35, vcc_lo, s0
	s_delay_alu instid0(SALU_CYCLE_1)
	s_and_saveexec_b32 s0, s35
	s_cbranch_execz .LBB59_35
; %bb.34:                               ;   in Loop: Header=BB59_6 Depth=1
	v_mul_lo_u32 v6, s11, v4
	v_mad_u64_u32 v[31:32], null, v0, s12, v[4:5]
	s_delay_alu instid0(VALU_DEP_2) | instskip(NEXT) | instid1(VALU_DEP_1)
	v_add3_u32 v6, v8, s30, v6
	v_add_nc_u16 v0, v6, 1
	global_store_b8 v31, v0, s[2:3]
.LBB59_35:                              ;   in Loop: Header=BB59_6 Depth=1
	s_or_b32 exec_lo, exec_lo, s0
	v_mul_hi_u32 v0, s6, v13
	v_cmp_gt_i32_e32 vcc_lo, s10, v1
	s_delay_alu instid0(VALU_DEP_2) | instskip(NEXT) | instid1(VALU_DEP_1)
	v_add3_u32 v0, s21, v0, v30
	v_lshrrev_b32_e32 v0, s7, v0
	s_delay_alu instid0(VALU_DEP_1) | instskip(NEXT) | instid1(VALU_DEP_1)
	v_cmp_gt_i32_e64 s0, s8, v0
	s_and_b32 s35, vcc_lo, s0
	s_delay_alu instid0(SALU_CYCLE_1)
	s_and_saveexec_b32 s0, s35
	s_cbranch_execz .LBB59_37
; %bb.36:                               ;   in Loop: Header=BB59_6 Depth=1
	v_mul_lo_u32 v4, s11, v0
	v_mad_u64_u32 v[31:32], null, v1, s12, v[0:1]
	s_delay_alu instid0(VALU_DEP_2) | instskip(NEXT) | instid1(VALU_DEP_1)
	v_add3_u32 v4, v8, s30, v4
	v_add_nc_u16 v0, v4, 2
	global_store_b8 v31, v0, s[2:3]
.LBB59_37:                              ;   in Loop: Header=BB59_6 Depth=1
	s_or_b32 exec_lo, exec_lo, s0
	v_mul_hi_u32 v0, s6, v12
	v_cmp_gt_i32_e32 vcc_lo, s10, v2
	s_delay_alu instid0(VALU_DEP_2) | instskip(NEXT) | instid1(VALU_DEP_1)
	v_add3_u32 v0, s20, v0, v30
	v_lshrrev_b32_e32 v0, s7, v0
	s_delay_alu instid0(VALU_DEP_1) | instskip(NEXT) | instid1(VALU_DEP_1)
	v_cmp_gt_i32_e64 s0, s8, v0
	s_and_b32 s35, vcc_lo, s0
	s_delay_alu instid0(SALU_CYCLE_1)
	s_and_saveexec_b32 s0, s35
	s_cbranch_execz .LBB59_39
; %bb.38:                               ;   in Loop: Header=BB59_6 Depth=1
	v_mul_lo_u32 v1, s11, v0
	s_delay_alu instid0(VALU_DEP_1) | instskip(NEXT) | instid1(VALU_DEP_1)
	v_add3_u32 v1, v8, s30, v1
	v_mad_u64_u32 v[31:32], null, v2, s12, v[0:1]
	v_add_nc_u16 v0, v1, 3
	global_store_b8 v31, v0, s[2:3]
.LBB59_39:                              ;   in Loop: Header=BB59_6 Depth=1
	s_or_b32 exec_lo, exec_lo, s0
	v_mul_hi_u32 v0, s6, v11
	v_cmp_gt_i32_e32 vcc_lo, s10, v3
	s_delay_alu instid0(VALU_DEP_2) | instskip(NEXT) | instid1(VALU_DEP_1)
	v_add3_u32 v0, s19, v0, v30
	v_lshrrev_b32_e32 v0, s7, v0
	s_delay_alu instid0(VALU_DEP_1) | instskip(NEXT) | instid1(VALU_DEP_1)
	v_cmp_gt_i32_e64 s0, s8, v0
	s_and_b32 s35, vcc_lo, s0
	s_delay_alu instid0(SALU_CYCLE_1)
	s_and_saveexec_b32 s0, s35
	s_cbranch_execz .LBB59_2
; %bb.40:                               ;   in Loop: Header=BB59_6 Depth=1
	v_mul_lo_u32 v1, s11, v0
	s_delay_alu instid0(VALU_DEP_1) | instskip(SKIP_1) | instid1(VALU_DEP_2)
	v_add3_u32 v4, v8, s30, v1
	v_mad_u64_u32 v[1:2], null, v3, s12, v[0:1]
	v_add_nc_u16 v0, v4, 4
	global_store_b8 v1, v0, s[2:3]
	s_branch .LBB59_2
.LBB59_41:
	s_nop 0
	s_sendmsg sendmsg(MSG_DEALLOC_VGPRS)
	s_endpgm
	.section	.rodata,"a",@progbits
	.p2align	6, 0x0
	.amdhsa_kernel _ZN5aiter22opus_moe_sorting_entryINS_32MoeSortingMultiPhaseKernel_P0_v1INS_19MoeSortingProblemMpIifhLi4ELb0ELb1ELb1EEEEENS4_5KargsEEEvT0_
		.amdhsa_group_segment_fixed_size 0
		.amdhsa_private_segment_fixed_size 0
		.amdhsa_kernarg_size 304
		.amdhsa_user_sgpr_count 15
		.amdhsa_user_sgpr_dispatch_ptr 0
		.amdhsa_user_sgpr_queue_ptr 0
		.amdhsa_user_sgpr_kernarg_segment_ptr 1
		.amdhsa_user_sgpr_dispatch_id 0
		.amdhsa_user_sgpr_private_segment_size 0
		.amdhsa_wavefront_size32 1
		.amdhsa_uses_dynamic_stack 0
		.amdhsa_enable_private_segment 0
		.amdhsa_system_sgpr_workgroup_id_x 1
		.amdhsa_system_sgpr_workgroup_id_y 0
		.amdhsa_system_sgpr_workgroup_id_z 0
		.amdhsa_system_sgpr_workgroup_info 0
		.amdhsa_system_vgpr_workitem_id 0
		.amdhsa_next_free_vgpr 34
		.amdhsa_next_free_sgpr 36
		.amdhsa_reserve_vcc 1
		.amdhsa_float_round_mode_32 0
		.amdhsa_float_round_mode_16_64 0
		.amdhsa_float_denorm_mode_32 3
		.amdhsa_float_denorm_mode_16_64 3
		.amdhsa_dx10_clamp 1
		.amdhsa_ieee_mode 1
		.amdhsa_fp16_overflow 0
		.amdhsa_workgroup_processor_mode 1
		.amdhsa_memory_ordered 1
		.amdhsa_forward_progress 0
		.amdhsa_shared_vgpr_count 0
		.amdhsa_exception_fp_ieee_invalid_op 0
		.amdhsa_exception_fp_denorm_src 0
		.amdhsa_exception_fp_ieee_div_zero 0
		.amdhsa_exception_fp_ieee_overflow 0
		.amdhsa_exception_fp_ieee_underflow 0
		.amdhsa_exception_fp_ieee_inexact 0
		.amdhsa_exception_int_div_zero 0
	.end_amdhsa_kernel
	.section	.text._ZN5aiter22opus_moe_sorting_entryINS_32MoeSortingMultiPhaseKernel_P0_v1INS_19MoeSortingProblemMpIifhLi4ELb0ELb1ELb1EEEEENS4_5KargsEEEvT0_,"axG",@progbits,_ZN5aiter22opus_moe_sorting_entryINS_32MoeSortingMultiPhaseKernel_P0_v1INS_19MoeSortingProblemMpIifhLi4ELb0ELb1ELb1EEEEENS4_5KargsEEEvT0_,comdat
.Lfunc_end59:
	.size	_ZN5aiter22opus_moe_sorting_entryINS_32MoeSortingMultiPhaseKernel_P0_v1INS_19MoeSortingProblemMpIifhLi4ELb0ELb1ELb1EEEEENS4_5KargsEEEvT0_, .Lfunc_end59-_ZN5aiter22opus_moe_sorting_entryINS_32MoeSortingMultiPhaseKernel_P0_v1INS_19MoeSortingProblemMpIifhLi4ELb0ELb1ELb1EEEEENS4_5KargsEEEvT0_
                                        ; -- End function
	.section	.AMDGPU.csdata,"",@progbits
; Kernel info:
; codeLenInByte = 2456
; NumSgprs: 38
; NumVgprs: 34
; ScratchSize: 0
; MemoryBound: 0
; FloatMode: 240
; IeeeMode: 1
; LDSByteSize: 0 bytes/workgroup (compile time only)
; SGPRBlocks: 4
; VGPRBlocks: 4
; NumSGPRsForWavesPerEU: 38
; NumVGPRsForWavesPerEU: 34
; Occupancy: 16
; WaveLimiterHint : 1
; COMPUTE_PGM_RSRC2:SCRATCH_EN: 0
; COMPUTE_PGM_RSRC2:USER_SGPR: 15
; COMPUTE_PGM_RSRC2:TRAP_HANDLER: 0
; COMPUTE_PGM_RSRC2:TGID_X_EN: 1
; COMPUTE_PGM_RSRC2:TGID_Y_EN: 0
; COMPUTE_PGM_RSRC2:TGID_Z_EN: 0
; COMPUTE_PGM_RSRC2:TIDIG_COMP_CNT: 0
	.section	.text._ZN5aiter22opus_moe_sorting_entryINS_29MoeSortingMultiPhaseKernel_P1INS_19MoeSortingProblemMpIifhLi16ELb0ELb1ELb1EEEEENS4_5KargsEEEvT0_,"axG",@progbits,_ZN5aiter22opus_moe_sorting_entryINS_29MoeSortingMultiPhaseKernel_P1INS_19MoeSortingProblemMpIifhLi16ELb0ELb1ELb1EEEEENS4_5KargsEEEvT0_,comdat
	.protected	_ZN5aiter22opus_moe_sorting_entryINS_29MoeSortingMultiPhaseKernel_P1INS_19MoeSortingProblemMpIifhLi16ELb0ELb1ELb1EEEEENS4_5KargsEEEvT0_ ; -- Begin function _ZN5aiter22opus_moe_sorting_entryINS_29MoeSortingMultiPhaseKernel_P1INS_19MoeSortingProblemMpIifhLi16ELb0ELb1ELb1EEEEENS4_5KargsEEEvT0_
	.globl	_ZN5aiter22opus_moe_sorting_entryINS_29MoeSortingMultiPhaseKernel_P1INS_19MoeSortingProblemMpIifhLi16ELb0ELb1ELb1EEEEENS4_5KargsEEEvT0_
	.p2align	8
	.type	_ZN5aiter22opus_moe_sorting_entryINS_29MoeSortingMultiPhaseKernel_P1INS_19MoeSortingProblemMpIifhLi16ELb0ELb1ELb1EEEEENS4_5KargsEEEvT0_,@function
_ZN5aiter22opus_moe_sorting_entryINS_29MoeSortingMultiPhaseKernel_P1INS_19MoeSortingProblemMpIifhLi16ELb0ELb1ELb1EEEEENS4_5KargsEEEvT0_: ; @_ZN5aiter22opus_moe_sorting_entryINS_29MoeSortingMultiPhaseKernel_P1INS_19MoeSortingProblemMpIifhLi16ELb0ELb1ELb1EEEEENS4_5KargsEEEvT0_
; %bb.0:
	s_clause 0x1
	s_load_b128 s[4:7], s[0:1], 0x8
	s_load_b64 s[0:1], s[0:1], 0x18
	s_mov_b32 s2, s15
	s_waitcnt lgkmcnt(0)
	s_load_b32 s3, s[4:5], 0x0
	s_mov_b32 s4, 0
	s_waitcnt lgkmcnt(0)
	s_cmp_gt_i32 s3, 0
	s_cbranch_scc1 .LBB60_2
; %bb.1:
	s_mov_b32 s5, 0
	s_delay_alu instid0(SALU_CYCLE_1)
	v_mov_b32_e32 v7, s5
	s_and_not1_b32 vcc_lo, exec_lo, s4
	s_cbranch_vccz .LBB60_3
	s_branch .LBB60_7
.LBB60_2:
                                        ; implicit-def: $sgpr5
	v_mov_b32_e32 v7, s5
.LBB60_3:
	s_add_i32 s3, s3, 31
	v_mbcnt_lo_u32_b32 v1, -1, 0
	s_ashr_i32 s4, s3, 31
	v_mov_b32_e32 v7, 0
	s_lshr_b32 s4, s4, 27
	v_mov_b32_e32 v13, v0
	s_add_i32 s3, s3, s4
	v_lshlrev_b32_e32 v1, 2, v1
	s_ashr_i32 s3, s3, 5
	s_delay_alu instid0(SALU_CYCLE_1)
	s_mul_i32 s4, s2, s3
	s_lshl_b32 s3, s3, 1
	s_lshl_b32 s5, s4, 5
	s_add_i32 s4, s3, 0xff
	v_xor_b32_e32 v8, 4, v1
	v_xor_b32_e32 v9, 8, v1
	s_lshr_b32 s4, s4, 8
	v_xor_b32_e32 v10, 16, v1
	v_xor_b32_e32 v11, 32, v1
	;; [unrolled: 1-line block ×3, first 2 shown]
	v_lshlrev_b32_e32 v1, 4, v0
	s_ashr_i32 s8, s5, 31
	s_max_u32 s4, s4, 1
	s_add_u32 s5, s6, s5
	s_addc_u32 s6, s7, s8
	v_add_co_u32 v5, s5, s5, v1
	s_delay_alu instid0(VALU_DEP_1)
	v_add_co_ci_u32_e64 v6, null, s6, 0, s5
	s_branch .LBB60_5
.LBB60_4:                               ;   in Loop: Header=BB60_5 Depth=1
	s_or_b32 exec_lo, exec_lo, s5
	s_waitcnt vmcnt(0)
	v_lshrrev_b32_e32 v14, 8, v1
	v_lshrrev_b32_e32 v15, 16, v1
	v_and_b32_e32 v18, 0xff, v1
	v_and_b32_e32 v19, 0xff, v2
	v_lshrrev_b32_e32 v1, 24, v1
	v_and_b32_e32 v14, 0xff, v14
	v_and_b32_e32 v15, 0xff, v15
	v_lshrrev_b32_e32 v17, 8, v2
	v_lshrrev_b32_e32 v16, 16, v2
	;; [unrolled: 1-line block ×3, first 2 shown]
	v_cmp_ne_u16_e32 vcc_lo, 0, v14
	v_add_nc_u32_e32 v13, 0x100, v13
	v_and_b32_e32 v17, 0xff, v17
	s_add_i32 s4, s4, -1
	s_delay_alu instid0(SALU_CYCLE_1) | instskip(SKIP_4) | instid1(VALU_DEP_4)
	s_cmp_eq_u32 s4, 0
	v_cndmask_b32_e64 v14, 0, 1, vcc_lo
	v_cmp_ne_u16_e32 vcc_lo, 0, v15
	v_cndmask_b32_e64 v15, 0, 1, vcc_lo
	v_cmp_ne_u16_e32 vcc_lo, 0, v18
	v_add_co_ci_u32_e32 v14, vcc_lo, 0, v14, vcc_lo
	v_cmp_ne_u16_e32 vcc_lo, 0, v19
	v_cndmask_b32_e64 v18, 0, 1, vcc_lo
	v_cmp_ne_u16_e32 vcc_lo, 0, v1
	s_delay_alu instid0(VALU_DEP_4)
	v_add_co_ci_u32_e32 v1, vcc_lo, v14, v15, vcc_lo
	v_cmp_ne_u16_e32 vcc_lo, 0, v17
	v_and_b32_e32 v14, 0xff, v16
	v_and_b32_e32 v15, 0xff, v3
	v_lshrrev_b32_e32 v16, 8, v3
	v_add_co_ci_u32_e32 v1, vcc_lo, v1, v18, vcc_lo
	s_delay_alu instid0(VALU_DEP_4) | instskip(SKIP_4) | instid1(VALU_DEP_4)
	v_cmp_ne_u16_e32 vcc_lo, 0, v14
	v_cndmask_b32_e64 v14, 0, 1, vcc_lo
	v_cmp_ne_u16_e32 vcc_lo, 0, v2
	v_lshrrev_b32_e32 v2, 16, v3
	v_lshrrev_b32_e32 v3, 24, v3
	v_add_co_ci_u32_e32 v1, vcc_lo, v1, v14, vcc_lo
	v_and_b32_e32 v14, 0xff, v16
	v_cmp_ne_u16_e32 vcc_lo, 0, v15
	v_and_b32_e32 v2, 0xff, v2
	v_lshrrev_b32_e32 v16, 16, v4
	v_cndmask_b32_e64 v15, 0, 1, vcc_lo
	v_cmp_ne_u16_e32 vcc_lo, 0, v14
	v_lshrrev_b32_e32 v14, 8, v4
	s_delay_alu instid0(VALU_DEP_3) | instskip(SKIP_4) | instid1(VALU_DEP_2)
	v_add_co_ci_u32_e32 v1, vcc_lo, v1, v15, vcc_lo
	v_cmp_ne_u16_e32 vcc_lo, 0, v2
	v_and_b32_e32 v15, 0xff, v4
	v_cndmask_b32_e64 v2, 0, 1, vcc_lo
	v_cmp_ne_u16_e32 vcc_lo, 0, v3
	v_add_co_ci_u32_e32 v1, vcc_lo, v1, v2, vcc_lo
	v_and_b32_e32 v2, 0xff, v14
	v_cmp_ne_u16_e32 vcc_lo, 0, v15
	v_and_b32_e32 v14, 0xff, v16
	v_cndmask_b32_e64 v3, 0, 1, vcc_lo
	s_delay_alu instid0(VALU_DEP_4) | instskip(SKIP_1) | instid1(VALU_DEP_3)
	v_cmp_ne_u16_e32 vcc_lo, 0, v2
	v_lshrrev_b32_e32 v2, 24, v4
	v_add_co_ci_u32_e32 v1, vcc_lo, v1, v3, vcc_lo
	v_cmp_ne_u16_e32 vcc_lo, 0, v14
	v_cndmask_b32_e64 v3, 0, 1, vcc_lo
	s_delay_alu instid0(VALU_DEP_4) | instskip(NEXT) | instid1(VALU_DEP_2)
	v_cmp_ne_u16_e32 vcc_lo, 0, v2
	v_add_co_ci_u32_e32 v1, vcc_lo, v1, v3, vcc_lo
	v_add_co_u32 v5, vcc_lo, 0x1000, v5
	v_add_co_ci_u32_e32 v6, vcc_lo, 0, v6, vcc_lo
	ds_bpermute_b32 v2, v8, v1
	s_waitcnt lgkmcnt(0)
	v_add_nc_u32_e32 v1, v1, v2
	ds_bpermute_b32 v2, v9, v1
	s_waitcnt lgkmcnt(0)
	v_add_nc_u32_e32 v1, v1, v2
	;; [unrolled: 3-line block ×4, first 2 shown]
	ds_bpermute_b32 v2, v12, v1
	s_waitcnt lgkmcnt(0)
	v_add3_u32 v7, v2, v7, v1
	s_cbranch_scc1 .LBB60_7
.LBB60_5:                               ; =>This Inner Loop Header: Depth=1
	v_dual_mov_b32 v1, 0 :: v_dual_mov_b32 v2, 0
	v_dual_mov_b32 v3, 0 :: v_dual_mov_b32 v4, 0
	s_mov_b32 s5, exec_lo
	v_cmpx_gt_i32_e64 s3, v13
	s_cbranch_execz .LBB60_4
; %bb.6:                                ;   in Loop: Header=BB60_5 Depth=1
	global_load_b128 v[1:4], v[5:6], off
	s_branch .LBB60_4
.LBB60_7:
	v_and_b32_e32 v1, 31, v0
	s_mov_b32 s3, exec_lo
	s_delay_alu instid0(VALU_DEP_1)
	v_cmpx_eq_u32_e32 0, v1
	s_cbranch_execz .LBB60_9
; %bb.8:
	v_lshrrev_b32_e32 v1, 3, v0
	ds_store_b32 v1, v7
.LBB60_9:
	s_or_b32 exec_lo, exec_lo, s3
	s_waitcnt lgkmcnt(0)
	s_barrier
	buffer_gl0_inv
	s_mov_b32 s3, exec_lo
	v_cmpx_eq_u32_e32 0, v0
	s_cbranch_execz .LBB60_11
; %bb.10:
	v_mov_b32_e32 v8, 0
	s_ashr_i32 s3, s2, 31
	ds_load_b128 v[0:3], v8
	ds_load_b128 v[4:7], v8 offset:16
	s_lshl_b64 s[2:3], s[2:3], 2
	s_delay_alu instid0(SALU_CYCLE_1) | instskip(SKIP_3) | instid1(VALU_DEP_1)
	s_add_u32 s0, s0, s2
	s_addc_u32 s1, s1, s3
	s_waitcnt lgkmcnt(1)
	v_add_nc_u32_e32 v0, v1, v0
	v_add_nc_u32_e32 v0, v0, v2
	s_delay_alu instid0(VALU_DEP_1) | instskip(SKIP_1) | instid1(VALU_DEP_1)
	v_add_nc_u32_e32 v0, v0, v3
	s_waitcnt lgkmcnt(0)
	v_add_nc_u32_e32 v0, v0, v4
	s_delay_alu instid0(VALU_DEP_1) | instskip(NEXT) | instid1(VALU_DEP_1)
	v_add_nc_u32_e32 v0, v0, v5
	v_add_nc_u32_e32 v0, v0, v6
	s_delay_alu instid0(VALU_DEP_1)
	v_add_nc_u32_e32 v0, v0, v7
	global_store_b32 v8, v0, s[0:1]
.LBB60_11:
	s_nop 0
	s_sendmsg sendmsg(MSG_DEALLOC_VGPRS)
	s_endpgm
	.section	.rodata,"a",@progbits
	.p2align	6, 0x0
	.amdhsa_kernel _ZN5aiter22opus_moe_sorting_entryINS_29MoeSortingMultiPhaseKernel_P1INS_19MoeSortingProblemMpIifhLi16ELb0ELb1ELb1EEEEENS4_5KargsEEEvT0_
		.amdhsa_group_segment_fixed_size 32
		.amdhsa_private_segment_fixed_size 0
		.amdhsa_kernarg_size 40
		.amdhsa_user_sgpr_count 15
		.amdhsa_user_sgpr_dispatch_ptr 0
		.amdhsa_user_sgpr_queue_ptr 0
		.amdhsa_user_sgpr_kernarg_segment_ptr 1
		.amdhsa_user_sgpr_dispatch_id 0
		.amdhsa_user_sgpr_private_segment_size 0
		.amdhsa_wavefront_size32 1
		.amdhsa_uses_dynamic_stack 0
		.amdhsa_enable_private_segment 0
		.amdhsa_system_sgpr_workgroup_id_x 1
		.amdhsa_system_sgpr_workgroup_id_y 0
		.amdhsa_system_sgpr_workgroup_id_z 0
		.amdhsa_system_sgpr_workgroup_info 0
		.amdhsa_system_vgpr_workitem_id 0
		.amdhsa_next_free_vgpr 20
		.amdhsa_next_free_sgpr 16
		.amdhsa_reserve_vcc 1
		.amdhsa_float_round_mode_32 0
		.amdhsa_float_round_mode_16_64 0
		.amdhsa_float_denorm_mode_32 3
		.amdhsa_float_denorm_mode_16_64 3
		.amdhsa_dx10_clamp 1
		.amdhsa_ieee_mode 1
		.amdhsa_fp16_overflow 0
		.amdhsa_workgroup_processor_mode 1
		.amdhsa_memory_ordered 1
		.amdhsa_forward_progress 0
		.amdhsa_shared_vgpr_count 0
		.amdhsa_exception_fp_ieee_invalid_op 0
		.amdhsa_exception_fp_denorm_src 0
		.amdhsa_exception_fp_ieee_div_zero 0
		.amdhsa_exception_fp_ieee_overflow 0
		.amdhsa_exception_fp_ieee_underflow 0
		.amdhsa_exception_fp_ieee_inexact 0
		.amdhsa_exception_int_div_zero 0
	.end_amdhsa_kernel
	.section	.text._ZN5aiter22opus_moe_sorting_entryINS_29MoeSortingMultiPhaseKernel_P1INS_19MoeSortingProblemMpIifhLi16ELb0ELb1ELb1EEEEENS4_5KargsEEEvT0_,"axG",@progbits,_ZN5aiter22opus_moe_sorting_entryINS_29MoeSortingMultiPhaseKernel_P1INS_19MoeSortingProblemMpIifhLi16ELb0ELb1ELb1EEEEENS4_5KargsEEEvT0_,comdat
.Lfunc_end60:
	.size	_ZN5aiter22opus_moe_sorting_entryINS_29MoeSortingMultiPhaseKernel_P1INS_19MoeSortingProblemMpIifhLi16ELb0ELb1ELb1EEEEENS4_5KargsEEEvT0_, .Lfunc_end60-_ZN5aiter22opus_moe_sorting_entryINS_29MoeSortingMultiPhaseKernel_P1INS_19MoeSortingProblemMpIifhLi16ELb0ELb1ELb1EEEEENS4_5KargsEEEvT0_
                                        ; -- End function
	.section	.AMDGPU.csdata,"",@progbits
; Kernel info:
; codeLenInByte = 884
; NumSgprs: 18
; NumVgprs: 20
; ScratchSize: 0
; MemoryBound: 0
; FloatMode: 240
; IeeeMode: 1
; LDSByteSize: 32 bytes/workgroup (compile time only)
; SGPRBlocks: 2
; VGPRBlocks: 2
; NumSGPRsForWavesPerEU: 18
; NumVGPRsForWavesPerEU: 20
; Occupancy: 16
; WaveLimiterHint : 0
; COMPUTE_PGM_RSRC2:SCRATCH_EN: 0
; COMPUTE_PGM_RSRC2:USER_SGPR: 15
; COMPUTE_PGM_RSRC2:TRAP_HANDLER: 0
; COMPUTE_PGM_RSRC2:TGID_X_EN: 1
; COMPUTE_PGM_RSRC2:TGID_Y_EN: 0
; COMPUTE_PGM_RSRC2:TGID_Z_EN: 0
; COMPUTE_PGM_RSRC2:TIDIG_COMP_CNT: 0
	.section	.text._ZN5aiter22opus_moe_sorting_entryINS_32MoeSortingMultiPhaseKernel_P0_v1INS_19MoeSortingProblemMpIifhLi4ELb0ELb0ELb1EEEEENS4_5KargsEEEvT0_,"axG",@progbits,_ZN5aiter22opus_moe_sorting_entryINS_32MoeSortingMultiPhaseKernel_P0_v1INS_19MoeSortingProblemMpIifhLi4ELb0ELb0ELb1EEEEENS4_5KargsEEEvT0_,comdat
	.protected	_ZN5aiter22opus_moe_sorting_entryINS_32MoeSortingMultiPhaseKernel_P0_v1INS_19MoeSortingProblemMpIifhLi4ELb0ELb0ELb1EEEEENS4_5KargsEEEvT0_ ; -- Begin function _ZN5aiter22opus_moe_sorting_entryINS_32MoeSortingMultiPhaseKernel_P0_v1INS_19MoeSortingProblemMpIifhLi4ELb0ELb0ELb1EEEEENS4_5KargsEEEvT0_
	.globl	_ZN5aiter22opus_moe_sorting_entryINS_32MoeSortingMultiPhaseKernel_P0_v1INS_19MoeSortingProblemMpIifhLi4ELb0ELb0ELb1EEEEENS4_5KargsEEEvT0_
	.p2align	8
	.type	_ZN5aiter22opus_moe_sorting_entryINS_32MoeSortingMultiPhaseKernel_P0_v1INS_19MoeSortingProblemMpIifhLi4ELb0ELb0ELb1EEEEENS4_5KargsEEEvT0_,@function
_ZN5aiter22opus_moe_sorting_entryINS_32MoeSortingMultiPhaseKernel_P0_v1INS_19MoeSortingProblemMpIifhLi4ELb0ELb0ELb1EEEEENS4_5KargsEEEvT0_: ; @_ZN5aiter22opus_moe_sorting_entryINS_32MoeSortingMultiPhaseKernel_P0_v1INS_19MoeSortingProblemMpIifhLi4ELb0ELb0ELb1EEEEENS4_5KargsEEEvT0_
; %bb.0:
	s_load_b128 s[4:7], s[0:1], 0x18
	s_lshl_b32 s22, s15, 8
	s_delay_alu instid0(SALU_CYCLE_1) | instskip(SKIP_2) | instid1(SALU_CYCLE_1)
	v_add_nc_u32_e32 v4, s22, v0
	s_waitcnt lgkmcnt(0)
	s_mul_i32 s2, s7, s4
	s_lshr_b32 s4, s2, 2
	s_mov_b32 s2, exec_lo
	v_cmpx_gt_i32_e64 s4, v4
	s_cbranch_execz .LBB61_41
; %bb.1:
	s_load_b32 s23, s[0:1], 0x30
	v_lshlrev_b32_e32 v1, 2, v0
	s_lshl_b32 s24, s15, 10
	s_clause 0x2
	s_load_b64 s[2:3], s[0:1], 0x0
	s_load_b64 s[8:9], s[0:1], 0x10
	;; [unrolled: 1-line block ×3, first 2 shown]
	s_mov_b32 s10, 0
	s_sub_i32 s7, 0, s7
	v_add_nc_u32_e32 v7, s24, v1
	s_mov_b32 s28, 0
	s_delay_alu instid0(VALU_DEP_1) | instskip(NEXT) | instid1(VALU_DEP_1)
	v_or_b32_e32 v8, 1, v7
	v_mov_b32_e32 v28, v8
	v_or_b32_e32 v9, 2, v7
	v_or_b32_e32 v10, 3, v7
	v_mov_b32_e32 v29, v7
	s_waitcnt lgkmcnt(0)
	s_lshl_b32 s15, s23, 9
	s_mul_i32 s21, s23, 0x300
	s_lshl_b32 s11, s23, 8
	s_add_i32 s19, s22, s15
	s_add_i32 s25, s22, s21
	v_add_lshl_u32 v12, v4, s11, 2
	v_add_lshl_u32 v14, s19, v0, 2
	;; [unrolled: 1-line block ×3, first 2 shown]
	s_lshl_b32 s12, s23, 12
	s_lshl_b32 s13, s23, 10
	;; [unrolled: 1-line block ×3, first 2 shown]
	s_mulk_i32 s23, 0xc00
	v_or_b32_e32 v15, 1, v12
	v_or_b32_e32 v16, 2, v12
	;; [unrolled: 1-line block ×9, first 2 shown]
	v_mov_b32_e32 v26, v10
	v_add3_u32 v11, s24, s13, v1
	v_add3_u32 v13, s14, s24, v1
	;; [unrolled: 1-line block ×3, first 2 shown]
	v_mov_b32_e32 v27, v9
	s_or_b32 s16, s13, 1
	s_or_b32 s17, s13, 2
	;; [unrolled: 1-line block ×9, first 2 shown]
	s_add_i32 s27, s11, s11
	s_branch .LBB61_6
.LBB61_2:                               ;   in Loop: Header=BB61_6 Depth=1
	s_or_b32 exec_lo, exec_lo, s33
	v_add3_u32 v4, s27, s11, v5
	v_add_nc_u32_e32 v29, s12, v29
	v_add_nc_u32_e32 v28, s12, v28
	;; [unrolled: 1-line block ×4, first 2 shown]
	v_cmp_le_i32_e32 vcc_lo, s4, v4
	v_add_nc_u32_e32 v12, s12, v12
	v_add_nc_u32_e32 v15, s12, v15
	;; [unrolled: 1-line block ×12, first 2 shown]
	s_add_i32 s28, s28, s12
	s_or_not1_b32 s33, vcc_lo, exec_lo
.LBB61_3:                               ;   in Loop: Header=BB61_6 Depth=1
	s_or_b32 exec_lo, exec_lo, s31
	s_delay_alu instid0(SALU_CYCLE_1)
	s_or_not1_b32 s31, s33, exec_lo
.LBB61_4:                               ;   in Loop: Header=BB61_6 Depth=1
	s_or_b32 exec_lo, exec_lo, s30
	s_delay_alu instid0(SALU_CYCLE_1)
	s_or_not1_b32 s30, s31, exec_lo
.LBB61_5:                               ;   in Loop: Header=BB61_6 Depth=1
	s_or_b32 exec_lo, exec_lo, s29
	s_delay_alu instid0(SALU_CYCLE_1) | instskip(NEXT) | instid1(SALU_CYCLE_1)
	s_and_b32 s29, exec_lo, s30
	s_or_b32 s10, s29, s10
	s_delay_alu instid0(SALU_CYCLE_1)
	s_and_not1_b32 exec_lo, exec_lo, s10
	s_cbranch_execz .LBB61_41
.LBB61_6:                               ; =>This Inner Loop Header: Depth=1
	v_ashrrev_i32_e32 v5, 31, v4
	s_mov_b32 s29, exec_lo
	s_delay_alu instid0(VALU_DEP_1) | instskip(NEXT) | instid1(VALU_DEP_1)
	v_lshlrev_b64 v[0:1], 4, v[4:5]
	v_add_co_u32 v0, vcc_lo, s2, v0
	s_delay_alu instid0(VALU_DEP_2)
	v_add_co_ci_u32_e32 v1, vcc_lo, s3, v1, vcc_lo
	global_load_b128 v[0:3], v[0:1], off
	s_waitcnt vmcnt(0)
	v_cmpx_gt_i32_e64 s5, v0
	s_cbranch_execnz .LBB61_28
; %bb.7:                                ;   in Loop: Header=BB61_6 Depth=1
	s_or_b32 exec_lo, exec_lo, s29
	s_delay_alu instid0(SALU_CYCLE_1)
	s_mov_b32 s29, exec_lo
	v_cmpx_gt_i32_e64 s5, v1
	s_cbranch_execnz .LBB61_29
.LBB61_8:                               ;   in Loop: Header=BB61_6 Depth=1
	s_or_b32 exec_lo, exec_lo, s29
	s_delay_alu instid0(SALU_CYCLE_1)
	s_mov_b32 s29, exec_lo
	v_cmpx_gt_i32_e64 s5, v2
	s_cbranch_execnz .LBB61_30
.LBB61_9:                               ;   in Loop: Header=BB61_6 Depth=1
	s_or_b32 exec_lo, exec_lo, s29
	s_delay_alu instid0(SALU_CYCLE_1)
	s_mov_b32 s29, exec_lo
	v_cmpx_gt_i32_e64 s5, v3
	s_cbranch_execz .LBB61_11
.LBB61_10:                              ;   in Loop: Header=BB61_6 Depth=1
	v_mul_hi_u32 v0, s0, v26
	s_delay_alu instid0(VALU_DEP_1) | instskip(NEXT) | instid1(VALU_DEP_1)
	v_add3_u32 v0, v10, v0, s28
	v_lshrrev_b32_e32 v0, s1, v0
	s_delay_alu instid0(VALU_DEP_1) | instskip(NEXT) | instid1(VALU_DEP_1)
	v_mul_lo_u32 v1, s7, v0
	v_add3_u32 v5, v7, s28, v1
	v_mad_u64_u32 v[1:2], null, v3, s6, v[0:1]
	s_delay_alu instid0(VALU_DEP_2)
	v_add_nc_u16 v0, v5, 4
	global_store_b8 v1, v0, s[8:9]
.LBB61_11:                              ;   in Loop: Header=BB61_6 Depth=1
	s_or_b32 exec_lo, exec_lo, s29
	v_add_nc_u32_e32 v5, s11, v4
	s_mov_b32 s30, -1
	s_mov_b32 s29, exec_lo
	s_delay_alu instid0(VALU_DEP_1)
	v_cmpx_gt_i32_e64 s4, v5
	s_cbranch_execz .LBB61_5
; %bb.12:                               ;   in Loop: Header=BB61_6 Depth=1
	v_ashrrev_i32_e32 v6, 31, v5
	s_mov_b32 s30, exec_lo
	s_delay_alu instid0(VALU_DEP_1) | instskip(NEXT) | instid1(VALU_DEP_1)
	v_lshlrev_b64 v[0:1], 4, v[5:6]
	v_add_co_u32 v0, vcc_lo, s2, v0
	s_delay_alu instid0(VALU_DEP_2)
	v_add_co_ci_u32_e32 v1, vcc_lo, s3, v1, vcc_lo
	global_load_b128 v[0:3], v[0:1], off
	s_waitcnt vmcnt(0)
	v_cmpx_gt_i32_e64 s5, v0
	s_cbranch_execnz .LBB61_31
; %bb.13:                               ;   in Loop: Header=BB61_6 Depth=1
	s_or_b32 exec_lo, exec_lo, s30
	s_delay_alu instid0(SALU_CYCLE_1)
	s_mov_b32 s30, exec_lo
	v_cmpx_gt_i32_e64 s5, v1
	s_cbranch_execnz .LBB61_32
.LBB61_14:                              ;   in Loop: Header=BB61_6 Depth=1
	s_or_b32 exec_lo, exec_lo, s30
	s_delay_alu instid0(SALU_CYCLE_1)
	s_mov_b32 s30, exec_lo
	v_cmpx_gt_i32_e64 s5, v2
	s_cbranch_execnz .LBB61_33
.LBB61_15:                              ;   in Loop: Header=BB61_6 Depth=1
	s_or_b32 exec_lo, exec_lo, s30
	s_delay_alu instid0(SALU_CYCLE_1)
	s_mov_b32 s30, exec_lo
	v_cmpx_gt_i32_e64 s5, v3
	s_cbranch_execz .LBB61_17
.LBB61_16:                              ;   in Loop: Header=BB61_6 Depth=1
	v_mul_hi_u32 v0, s0, v17
	s_delay_alu instid0(VALU_DEP_1) | instskip(NEXT) | instid1(VALU_DEP_1)
	v_add_nc_u32_e32 v0, s18, v0
	v_add3_u32 v0, v7, s28, v0
	s_delay_alu instid0(VALU_DEP_1) | instskip(NEXT) | instid1(VALU_DEP_1)
	v_lshrrev_b32_e32 v0, s1, v0
	v_mul_lo_u32 v1, s7, v0
	s_delay_alu instid0(VALU_DEP_1) | instskip(SKIP_1) | instid1(VALU_DEP_2)
	v_add3_u32 v6, v11, s28, v1
	v_mad_u64_u32 v[1:2], null, v3, s6, v[0:1]
	v_add_nc_u16 v0, v6, 4
	global_store_b8 v1, v0, s[8:9]
.LBB61_17:                              ;   in Loop: Header=BB61_6 Depth=1
	s_or_b32 exec_lo, exec_lo, s30
	v_add_nc_u32_e32 v0, s15, v4
	s_mov_b32 s31, -1
	s_mov_b32 s30, exec_lo
	s_delay_alu instid0(VALU_DEP_1)
	v_cmpx_gt_i32_e64 s4, v0
	s_cbranch_execz .LBB61_4
; %bb.18:                               ;   in Loop: Header=BB61_6 Depth=1
	v_ashrrev_i32_e32 v1, 31, v0
	s_mov_b32 s31, exec_lo
	s_delay_alu instid0(VALU_DEP_1) | instskip(NEXT) | instid1(VALU_DEP_1)
	v_lshlrev_b64 v[0:1], 4, v[0:1]
	v_add_co_u32 v0, vcc_lo, s2, v0
	s_delay_alu instid0(VALU_DEP_2)
	v_add_co_ci_u32_e32 v1, vcc_lo, s3, v1, vcc_lo
	global_load_b128 v[0:3], v[0:1], off
	s_waitcnt vmcnt(0)
	v_cmpx_gt_i32_e64 s5, v0
	s_cbranch_execnz .LBB61_34
; %bb.19:                               ;   in Loop: Header=BB61_6 Depth=1
	s_or_b32 exec_lo, exec_lo, s31
	s_delay_alu instid0(SALU_CYCLE_1)
	s_mov_b32 s31, exec_lo
	v_cmpx_gt_i32_e64 s5, v1
	s_cbranch_execnz .LBB61_35
.LBB61_20:                              ;   in Loop: Header=BB61_6 Depth=1
	s_or_b32 exec_lo, exec_lo, s31
	s_delay_alu instid0(SALU_CYCLE_1)
	s_mov_b32 s31, exec_lo
	v_cmpx_gt_i32_e64 s5, v2
	s_cbranch_execnz .LBB61_36
.LBB61_21:                              ;   in Loop: Header=BB61_6 Depth=1
	s_or_b32 exec_lo, exec_lo, s31
	s_delay_alu instid0(SALU_CYCLE_1)
	s_mov_b32 s31, exec_lo
	v_cmpx_gt_i32_e64 s5, v3
	s_cbranch_execz .LBB61_23
.LBB61_22:                              ;   in Loop: Header=BB61_6 Depth=1
	v_mul_hi_u32 v0, s0, v21
	s_delay_alu instid0(VALU_DEP_1) | instskip(NEXT) | instid1(VALU_DEP_1)
	v_add_nc_u32_e32 v0, s22, v0
	v_add3_u32 v0, v7, s28, v0
	s_delay_alu instid0(VALU_DEP_1) | instskip(NEXT) | instid1(VALU_DEP_1)
	v_lshrrev_b32_e32 v0, s1, v0
	v_mul_lo_u32 v1, s7, v0
	s_delay_alu instid0(VALU_DEP_1) | instskip(SKIP_1) | instid1(VALU_DEP_2)
	v_add3_u32 v6, v13, s28, v1
	v_mad_u64_u32 v[1:2], null, v3, s6, v[0:1]
	v_add_nc_u16 v0, v6, 4
	global_store_b8 v1, v0, s[8:9]
.LBB61_23:                              ;   in Loop: Header=BB61_6 Depth=1
	s_or_b32 exec_lo, exec_lo, s31
	v_add_nc_u32_e32 v0, s21, v4
	s_mov_b32 s33, -1
	s_mov_b32 s31, exec_lo
                                        ; implicit-def: $vgpr4
	s_delay_alu instid0(VALU_DEP_1)
	v_cmpx_gt_i32_e64 s4, v0
	s_cbranch_execz .LBB61_3
; %bb.24:                               ;   in Loop: Header=BB61_6 Depth=1
	v_ashrrev_i32_e32 v1, 31, v0
	s_mov_b32 s33, exec_lo
	s_delay_alu instid0(VALU_DEP_1) | instskip(NEXT) | instid1(VALU_DEP_1)
	v_lshlrev_b64 v[0:1], 4, v[0:1]
	v_add_co_u32 v0, vcc_lo, s2, v0
	s_delay_alu instid0(VALU_DEP_2)
	v_add_co_ci_u32_e32 v1, vcc_lo, s3, v1, vcc_lo
	global_load_b128 v[0:3], v[0:1], off
	s_waitcnt vmcnt(0)
	v_cmpx_gt_i32_e64 s5, v0
	s_cbranch_execnz .LBB61_37
; %bb.25:                               ;   in Loop: Header=BB61_6 Depth=1
	s_or_b32 exec_lo, exec_lo, s33
	s_delay_alu instid0(SALU_CYCLE_1)
	s_mov_b32 s33, exec_lo
	v_cmpx_gt_i32_e64 s5, v1
	s_cbranch_execnz .LBB61_38
.LBB61_26:                              ;   in Loop: Header=BB61_6 Depth=1
	s_or_b32 exec_lo, exec_lo, s33
	s_delay_alu instid0(SALU_CYCLE_1)
	s_mov_b32 s33, exec_lo
	v_cmpx_gt_i32_e64 s5, v2
	s_cbranch_execnz .LBB61_39
.LBB61_27:                              ;   in Loop: Header=BB61_6 Depth=1
	s_or_b32 exec_lo, exec_lo, s33
	s_delay_alu instid0(SALU_CYCLE_1)
	s_mov_b32 s33, exec_lo
	v_cmpx_gt_i32_e64 s5, v3
	s_cbranch_execz .LBB61_2
	s_branch .LBB61_40
.LBB61_28:                              ;   in Loop: Header=BB61_6 Depth=1
	v_mul_hi_u32 v6, s0, v29
	v_add_nc_u32_e32 v5, s28, v7
	s_delay_alu instid0(VALU_DEP_1) | instskip(NEXT) | instid1(VALU_DEP_1)
	v_add_nc_u32_e32 v6, v5, v6
	v_lshrrev_b32_e32 v6, s1, v6
	s_delay_alu instid0(VALU_DEP_1) | instskip(SKIP_1) | instid1(VALU_DEP_2)
	v_mad_u64_u32 v[30:31], null, s7, v6, v[5:6]
	v_mad_u64_u32 v[31:32], null, v0, s6, v[6:7]
	v_add_nc_u16 v0, v30, 1
	global_store_b8 v31, v0, s[8:9]
	s_or_b32 exec_lo, exec_lo, s29
	s_delay_alu instid0(SALU_CYCLE_1)
	s_mov_b32 s29, exec_lo
	v_cmpx_gt_i32_e64 s5, v1
	s_cbranch_execz .LBB61_8
.LBB61_29:                              ;   in Loop: Header=BB61_6 Depth=1
	v_mul_hi_u32 v0, s0, v28
	s_delay_alu instid0(VALU_DEP_1) | instskip(NEXT) | instid1(VALU_DEP_1)
	v_add3_u32 v0, v8, v0, s28
	v_lshrrev_b32_e32 v0, s1, v0
	s_delay_alu instid0(VALU_DEP_1) | instskip(NEXT) | instid1(VALU_DEP_1)
	v_mul_lo_u32 v5, s7, v0
	v_add3_u32 v30, v7, s28, v5
	v_mad_u64_u32 v[5:6], null, v1, s6, v[0:1]
	s_delay_alu instid0(VALU_DEP_2) | instskip(SKIP_2) | instid1(SALU_CYCLE_1)
	v_add_nc_u16 v0, v30, 2
	global_store_b8 v5, v0, s[8:9]
	s_or_b32 exec_lo, exec_lo, s29
	s_mov_b32 s29, exec_lo
	v_cmpx_gt_i32_e64 s5, v2
	s_cbranch_execz .LBB61_9
.LBB61_30:                              ;   in Loop: Header=BB61_6 Depth=1
	v_mul_hi_u32 v0, s0, v27
	s_delay_alu instid0(VALU_DEP_1) | instskip(NEXT) | instid1(VALU_DEP_1)
	v_add3_u32 v0, v9, v0, s28
	v_lshrrev_b32_e32 v0, s1, v0
	s_delay_alu instid0(VALU_DEP_1) | instskip(NEXT) | instid1(VALU_DEP_1)
	v_mul_lo_u32 v1, s7, v0
	v_add3_u32 v1, v7, s28, v1
	s_delay_alu instid0(VALU_DEP_1) | instskip(SKIP_3) | instid1(SALU_CYCLE_1)
	v_mad_u64_u32 v[5:6], null, v2, s6, v[0:1]
	v_add_nc_u16 v0, v1, 3
	global_store_b8 v5, v0, s[8:9]
	s_or_b32 exec_lo, exec_lo, s29
	s_mov_b32 s29, exec_lo
	v_cmpx_gt_i32_e64 s5, v3
	s_cbranch_execnz .LBB61_10
	s_branch .LBB61_11
.LBB61_31:                              ;   in Loop: Header=BB61_6 Depth=1
	v_mul_hi_u32 v6, s0, v12
	s_delay_alu instid0(VALU_DEP_1) | instskip(NEXT) | instid1(VALU_DEP_1)
	v_add_nc_u32_e32 v6, s13, v6
	v_add3_u32 v6, v7, s28, v6
	s_delay_alu instid0(VALU_DEP_1) | instskip(NEXT) | instid1(VALU_DEP_1)
	v_lshrrev_b32_e32 v6, s1, v6
	v_mul_lo_u32 v30, s7, v6
	s_delay_alu instid0(VALU_DEP_1) | instskip(SKIP_1) | instid1(VALU_DEP_2)
	v_add3_u32 v32, v11, s28, v30
	v_mad_u64_u32 v[30:31], null, v0, s6, v[6:7]
	v_add_nc_u16 v0, v32, 1
	global_store_b8 v30, v0, s[8:9]
	s_or_b32 exec_lo, exec_lo, s30
	s_delay_alu instid0(SALU_CYCLE_1)
	s_mov_b32 s30, exec_lo
	v_cmpx_gt_i32_e64 s5, v1
	s_cbranch_execz .LBB61_14
.LBB61_32:                              ;   in Loop: Header=BB61_6 Depth=1
	v_mul_hi_u32 v0, s0, v15
	s_delay_alu instid0(VALU_DEP_1) | instskip(NEXT) | instid1(VALU_DEP_1)
	v_add_nc_u32_e32 v0, s16, v0
	v_add3_u32 v0, v7, s28, v0
	s_delay_alu instid0(VALU_DEP_1) | instskip(NEXT) | instid1(VALU_DEP_1)
	v_lshrrev_b32_e32 v0, s1, v0
	v_mul_lo_u32 v6, s7, v0
	v_mad_u64_u32 v[30:31], null, v1, s6, v[0:1]
	s_delay_alu instid0(VALU_DEP_2) | instskip(NEXT) | instid1(VALU_DEP_1)
	v_add3_u32 v6, v11, s28, v6
	v_add_nc_u16 v0, v6, 2
	global_store_b8 v30, v0, s[8:9]
	s_or_b32 exec_lo, exec_lo, s30
	s_delay_alu instid0(SALU_CYCLE_1)
	s_mov_b32 s30, exec_lo
	v_cmpx_gt_i32_e64 s5, v2
	s_cbranch_execz .LBB61_15
.LBB61_33:                              ;   in Loop: Header=BB61_6 Depth=1
	v_mul_hi_u32 v0, s0, v16
	s_delay_alu instid0(VALU_DEP_1) | instskip(NEXT) | instid1(VALU_DEP_1)
	v_add_nc_u32_e32 v0, s17, v0
	v_add3_u32 v0, v7, s28, v0
	s_delay_alu instid0(VALU_DEP_1) | instskip(NEXT) | instid1(VALU_DEP_1)
	v_lshrrev_b32_e32 v0, s1, v0
	v_mul_lo_u32 v1, s7, v0
	s_delay_alu instid0(VALU_DEP_1) | instskip(NEXT) | instid1(VALU_DEP_1)
	v_add3_u32 v1, v11, s28, v1
	v_mad_u64_u32 v[30:31], null, v2, s6, v[0:1]
	v_add_nc_u16 v0, v1, 3
	global_store_b8 v30, v0, s[8:9]
	s_or_b32 exec_lo, exec_lo, s30
	s_delay_alu instid0(SALU_CYCLE_1)
	s_mov_b32 s30, exec_lo
	v_cmpx_gt_i32_e64 s5, v3
	s_cbranch_execnz .LBB61_16
	s_branch .LBB61_17
.LBB61_34:                              ;   in Loop: Header=BB61_6 Depth=1
	v_mul_hi_u32 v6, s0, v14
	s_delay_alu instid0(VALU_DEP_1) | instskip(NEXT) | instid1(VALU_DEP_1)
	v_add_nc_u32_e32 v6, s14, v6
	v_add3_u32 v6, v7, s28, v6
	s_delay_alu instid0(VALU_DEP_1) | instskip(NEXT) | instid1(VALU_DEP_1)
	v_lshrrev_b32_e32 v6, s1, v6
	v_mul_lo_u32 v30, s7, v6
	s_delay_alu instid0(VALU_DEP_1) | instskip(SKIP_1) | instid1(VALU_DEP_2)
	v_add3_u32 v32, v13, s28, v30
	v_mad_u64_u32 v[30:31], null, v0, s6, v[6:7]
	v_add_nc_u16 v0, v32, 1
	global_store_b8 v30, v0, s[8:9]
	s_or_b32 exec_lo, exec_lo, s31
	s_delay_alu instid0(SALU_CYCLE_1)
	s_mov_b32 s31, exec_lo
	v_cmpx_gt_i32_e64 s5, v1
	s_cbranch_execz .LBB61_20
.LBB61_35:                              ;   in Loop: Header=BB61_6 Depth=1
	v_mul_hi_u32 v0, s0, v18
	s_delay_alu instid0(VALU_DEP_1) | instskip(NEXT) | instid1(VALU_DEP_1)
	v_add_nc_u32_e32 v0, s19, v0
	v_add3_u32 v0, v7, s28, v0
	s_delay_alu instid0(VALU_DEP_1) | instskip(NEXT) | instid1(VALU_DEP_1)
	v_lshrrev_b32_e32 v0, s1, v0
	v_mul_lo_u32 v6, s7, v0
	v_mad_u64_u32 v[30:31], null, v1, s6, v[0:1]
	s_delay_alu instid0(VALU_DEP_2) | instskip(NEXT) | instid1(VALU_DEP_1)
	v_add3_u32 v6, v13, s28, v6
	v_add_nc_u16 v0, v6, 2
	global_store_b8 v30, v0, s[8:9]
	s_or_b32 exec_lo, exec_lo, s31
	s_delay_alu instid0(SALU_CYCLE_1)
	s_mov_b32 s31, exec_lo
	v_cmpx_gt_i32_e64 s5, v2
	s_cbranch_execz .LBB61_21
.LBB61_36:                              ;   in Loop: Header=BB61_6 Depth=1
	v_mul_hi_u32 v0, s0, v19
	s_delay_alu instid0(VALU_DEP_1) | instskip(NEXT) | instid1(VALU_DEP_1)
	v_add_nc_u32_e32 v0, s20, v0
	v_add3_u32 v0, v7, s28, v0
	s_delay_alu instid0(VALU_DEP_1) | instskip(NEXT) | instid1(VALU_DEP_1)
	v_lshrrev_b32_e32 v0, s1, v0
	v_mul_lo_u32 v1, s7, v0
	s_delay_alu instid0(VALU_DEP_1) | instskip(NEXT) | instid1(VALU_DEP_1)
	v_add3_u32 v1, v13, s28, v1
	v_mad_u64_u32 v[30:31], null, v2, s6, v[0:1]
	v_add_nc_u16 v0, v1, 3
	global_store_b8 v30, v0, s[8:9]
	s_or_b32 exec_lo, exec_lo, s31
	s_delay_alu instid0(SALU_CYCLE_1)
	s_mov_b32 s31, exec_lo
	v_cmpx_gt_i32_e64 s5, v3
	s_cbranch_execnz .LBB61_22
	s_branch .LBB61_23
.LBB61_37:                              ;   in Loop: Header=BB61_6 Depth=1
	v_mul_hi_u32 v4, s0, v20
	s_delay_alu instid0(VALU_DEP_1) | instskip(NEXT) | instid1(VALU_DEP_1)
	v_add_nc_u32_e32 v4, s23, v4
	v_add3_u32 v4, v7, s28, v4
	s_delay_alu instid0(VALU_DEP_1) | instskip(NEXT) | instid1(VALU_DEP_1)
	v_lshrrev_b32_e32 v4, s1, v4
	v_mul_lo_u32 v6, s7, v4
	v_mad_u64_u32 v[30:31], null, v0, s6, v[4:5]
	s_delay_alu instid0(VALU_DEP_2) | instskip(NEXT) | instid1(VALU_DEP_1)
	v_add3_u32 v6, v22, s28, v6
	v_add_nc_u16 v0, v6, 1
	global_store_b8 v30, v0, s[8:9]
	s_or_b32 exec_lo, exec_lo, s33
	s_delay_alu instid0(SALU_CYCLE_1)
	s_mov_b32 s33, exec_lo
	v_cmpx_gt_i32_e64 s5, v1
	s_cbranch_execz .LBB61_26
.LBB61_38:                              ;   in Loop: Header=BB61_6 Depth=1
	v_mul_hi_u32 v0, s0, v23
	s_delay_alu instid0(VALU_DEP_1) | instskip(NEXT) | instid1(VALU_DEP_1)
	v_add_nc_u32_e32 v0, s24, v0
	v_add3_u32 v0, v7, s28, v0
	s_delay_alu instid0(VALU_DEP_1) | instskip(NEXT) | instid1(VALU_DEP_1)
	v_lshrrev_b32_e32 v0, s1, v0
	v_mul_lo_u32 v4, s7, v0
	v_mad_u64_u32 v[30:31], null, v1, s6, v[0:1]
	s_delay_alu instid0(VALU_DEP_2) | instskip(NEXT) | instid1(VALU_DEP_1)
	v_add3_u32 v4, v22, s28, v4
	v_add_nc_u16 v0, v4, 2
	global_store_b8 v30, v0, s[8:9]
	s_or_b32 exec_lo, exec_lo, s33
	s_delay_alu instid0(SALU_CYCLE_1)
	s_mov_b32 s33, exec_lo
	v_cmpx_gt_i32_e64 s5, v2
	s_cbranch_execz .LBB61_27
.LBB61_39:                              ;   in Loop: Header=BB61_6 Depth=1
	v_mul_hi_u32 v0, s0, v24
	s_delay_alu instid0(VALU_DEP_1) | instskip(NEXT) | instid1(VALU_DEP_1)
	v_add_nc_u32_e32 v0, s25, v0
	v_add3_u32 v0, v7, s28, v0
	s_delay_alu instid0(VALU_DEP_1) | instskip(NEXT) | instid1(VALU_DEP_1)
	v_lshrrev_b32_e32 v0, s1, v0
	v_mul_lo_u32 v1, s7, v0
	s_delay_alu instid0(VALU_DEP_1) | instskip(NEXT) | instid1(VALU_DEP_1)
	v_add3_u32 v1, v22, s28, v1
	v_mad_u64_u32 v[30:31], null, v2, s6, v[0:1]
	v_add_nc_u16 v0, v1, 3
	global_store_b8 v30, v0, s[8:9]
	s_or_b32 exec_lo, exec_lo, s33
	s_delay_alu instid0(SALU_CYCLE_1)
	s_mov_b32 s33, exec_lo
	v_cmpx_gt_i32_e64 s5, v3
	s_cbranch_execz .LBB61_2
.LBB61_40:                              ;   in Loop: Header=BB61_6 Depth=1
	v_mul_hi_u32 v0, s0, v25
	s_delay_alu instid0(VALU_DEP_1) | instskip(NEXT) | instid1(VALU_DEP_1)
	v_add_nc_u32_e32 v0, s26, v0
	v_add3_u32 v0, v7, s28, v0
	s_delay_alu instid0(VALU_DEP_1) | instskip(NEXT) | instid1(VALU_DEP_1)
	v_lshrrev_b32_e32 v0, s1, v0
	v_mul_lo_u32 v1, s7, v0
	s_delay_alu instid0(VALU_DEP_1) | instskip(SKIP_1) | instid1(VALU_DEP_2)
	v_add3_u32 v4, v22, s28, v1
	v_mad_u64_u32 v[1:2], null, v3, s6, v[0:1]
	v_add_nc_u16 v0, v4, 4
	global_store_b8 v1, v0, s[8:9]
	s_branch .LBB61_2
.LBB61_41:
	s_nop 0
	s_sendmsg sendmsg(MSG_DEALLOC_VGPRS)
	s_endpgm
	.section	.rodata,"a",@progbits
	.p2align	6, 0x0
	.amdhsa_kernel _ZN5aiter22opus_moe_sorting_entryINS_32MoeSortingMultiPhaseKernel_P0_v1INS_19MoeSortingProblemMpIifhLi4ELb0ELb0ELb1EEEEENS4_5KargsEEEvT0_
		.amdhsa_group_segment_fixed_size 0
		.amdhsa_private_segment_fixed_size 0
		.amdhsa_kernarg_size 304
		.amdhsa_user_sgpr_count 15
		.amdhsa_user_sgpr_dispatch_ptr 0
		.amdhsa_user_sgpr_queue_ptr 0
		.amdhsa_user_sgpr_kernarg_segment_ptr 1
		.amdhsa_user_sgpr_dispatch_id 0
		.amdhsa_user_sgpr_private_segment_size 0
		.amdhsa_wavefront_size32 1
		.amdhsa_uses_dynamic_stack 0
		.amdhsa_enable_private_segment 0
		.amdhsa_system_sgpr_workgroup_id_x 1
		.amdhsa_system_sgpr_workgroup_id_y 0
		.amdhsa_system_sgpr_workgroup_id_z 0
		.amdhsa_system_sgpr_workgroup_info 0
		.amdhsa_system_vgpr_workitem_id 0
		.amdhsa_next_free_vgpr 33
		.amdhsa_next_free_sgpr 34
		.amdhsa_reserve_vcc 1
		.amdhsa_float_round_mode_32 0
		.amdhsa_float_round_mode_16_64 0
		.amdhsa_float_denorm_mode_32 3
		.amdhsa_float_denorm_mode_16_64 3
		.amdhsa_dx10_clamp 1
		.amdhsa_ieee_mode 1
		.amdhsa_fp16_overflow 0
		.amdhsa_workgroup_processor_mode 1
		.amdhsa_memory_ordered 1
		.amdhsa_forward_progress 0
		.amdhsa_shared_vgpr_count 0
		.amdhsa_exception_fp_ieee_invalid_op 0
		.amdhsa_exception_fp_denorm_src 0
		.amdhsa_exception_fp_ieee_div_zero 0
		.amdhsa_exception_fp_ieee_overflow 0
		.amdhsa_exception_fp_ieee_underflow 0
		.amdhsa_exception_fp_ieee_inexact 0
		.amdhsa_exception_int_div_zero 0
	.end_amdhsa_kernel
	.section	.text._ZN5aiter22opus_moe_sorting_entryINS_32MoeSortingMultiPhaseKernel_P0_v1INS_19MoeSortingProblemMpIifhLi4ELb0ELb0ELb1EEEEENS4_5KargsEEEvT0_,"axG",@progbits,_ZN5aiter22opus_moe_sorting_entryINS_32MoeSortingMultiPhaseKernel_P0_v1INS_19MoeSortingProblemMpIifhLi4ELb0ELb0ELb1EEEEENS4_5KargsEEEvT0_,comdat
.Lfunc_end61:
	.size	_ZN5aiter22opus_moe_sorting_entryINS_32MoeSortingMultiPhaseKernel_P0_v1INS_19MoeSortingProblemMpIifhLi4ELb0ELb0ELb1EEEEENS4_5KargsEEEvT0_, .Lfunc_end61-_ZN5aiter22opus_moe_sorting_entryINS_32MoeSortingMultiPhaseKernel_P0_v1INS_19MoeSortingProblemMpIifhLi4ELb0ELb0ELb1EEEEENS4_5KargsEEEvT0_
                                        ; -- End function
	.section	.AMDGPU.csdata,"",@progbits
; Kernel info:
; codeLenInByte = 2576
; NumSgprs: 36
; NumVgprs: 33
; ScratchSize: 0
; MemoryBound: 0
; FloatMode: 240
; IeeeMode: 1
; LDSByteSize: 0 bytes/workgroup (compile time only)
; SGPRBlocks: 4
; VGPRBlocks: 4
; NumSGPRsForWavesPerEU: 36
; NumVGPRsForWavesPerEU: 33
; Occupancy: 16
; WaveLimiterHint : 1
; COMPUTE_PGM_RSRC2:SCRATCH_EN: 0
; COMPUTE_PGM_RSRC2:USER_SGPR: 15
; COMPUTE_PGM_RSRC2:TRAP_HANDLER: 0
; COMPUTE_PGM_RSRC2:TGID_X_EN: 1
; COMPUTE_PGM_RSRC2:TGID_Y_EN: 0
; COMPUTE_PGM_RSRC2:TGID_Z_EN: 0
; COMPUTE_PGM_RSRC2:TIDIG_COMP_CNT: 0
	.section	.text._ZN5aiter22opus_moe_sorting_entryINS_29MoeSortingMultiPhaseKernel_P1INS_19MoeSortingProblemMpIifhLi16ELb0ELb0ELb1EEEEENS4_5KargsEEEvT0_,"axG",@progbits,_ZN5aiter22opus_moe_sorting_entryINS_29MoeSortingMultiPhaseKernel_P1INS_19MoeSortingProblemMpIifhLi16ELb0ELb0ELb1EEEEENS4_5KargsEEEvT0_,comdat
	.protected	_ZN5aiter22opus_moe_sorting_entryINS_29MoeSortingMultiPhaseKernel_P1INS_19MoeSortingProblemMpIifhLi16ELb0ELb0ELb1EEEEENS4_5KargsEEEvT0_ ; -- Begin function _ZN5aiter22opus_moe_sorting_entryINS_29MoeSortingMultiPhaseKernel_P1INS_19MoeSortingProblemMpIifhLi16ELb0ELb0ELb1EEEEENS4_5KargsEEEvT0_
	.globl	_ZN5aiter22opus_moe_sorting_entryINS_29MoeSortingMultiPhaseKernel_P1INS_19MoeSortingProblemMpIifhLi16ELb0ELb0ELb1EEEEENS4_5KargsEEEvT0_
	.p2align	8
	.type	_ZN5aiter22opus_moe_sorting_entryINS_29MoeSortingMultiPhaseKernel_P1INS_19MoeSortingProblemMpIifhLi16ELb0ELb0ELb1EEEEENS4_5KargsEEEvT0_,@function
_ZN5aiter22opus_moe_sorting_entryINS_29MoeSortingMultiPhaseKernel_P1INS_19MoeSortingProblemMpIifhLi16ELb0ELb0ELb1EEEEENS4_5KargsEEEvT0_: ; @_ZN5aiter22opus_moe_sorting_entryINS_29MoeSortingMultiPhaseKernel_P1INS_19MoeSortingProblemMpIifhLi16ELb0ELb0ELb1EEEEENS4_5KargsEEEvT0_
; %bb.0:
	s_load_b32 s6, s[0:1], 0x20
	s_mov_b32 s4, s15
	s_waitcnt lgkmcnt(0)
	s_cmp_gt_i32 s6, 15
	s_cbranch_scc1 .LBB62_2
; %bb.1:
	s_mov_b32 s7, 0
	s_load_b128 s[0:3], s[0:1], 0x10
	v_mov_b32_e32 v7, s7
	s_cbranch_execz .LBB62_3
	s_branch .LBB62_7
.LBB62_2:
                                        ; implicit-def: $sgpr7
	s_load_b128 s[0:3], s[0:1], 0x10
	v_mov_b32_e32 v7, s7
.LBB62_3:
	s_ashr_i32 s5, s6, 31
	v_mbcnt_lo_u32_b32 v1, -1, 0
	s_lshr_b32 s5, s5, 28
	s_mul_i32 s7, s6, s4
	s_add_i32 s5, s6, s5
	s_ashr_i32 s8, s7, 31
	v_lshlrev_b32_e32 v1, 2, v1
	s_ashr_i32 s5, s5, 4
	v_mov_b32_e32 v7, 0
	s_add_i32 s6, s5, 0xff
	v_mov_b32_e32 v13, v0
	s_lshr_b32 s6, s6, 8
	v_xor_b32_e32 v8, 4, v1
	v_xor_b32_e32 v9, 8, v1
	;; [unrolled: 1-line block ×5, first 2 shown]
	v_lshlrev_b32_e32 v1, 4, v0
	s_max_u32 s6, s6, 1
	s_waitcnt lgkmcnt(0)
	s_add_u32 s0, s0, s7
	s_addc_u32 s1, s1, s8
	v_add_co_u32 v5, s0, s0, v1
	s_delay_alu instid0(VALU_DEP_1)
	v_add_co_ci_u32_e64 v6, null, s1, 0, s0
	s_branch .LBB62_5
.LBB62_4:                               ;   in Loop: Header=BB62_5 Depth=1
	s_or_b32 exec_lo, exec_lo, s0
	s_waitcnt vmcnt(0)
	v_lshrrev_b32_e32 v14, 8, v1
	v_lshrrev_b32_e32 v15, 16, v1
	v_and_b32_e32 v18, 0xff, v1
	v_and_b32_e32 v19, 0xff, v2
	v_lshrrev_b32_e32 v1, 24, v1
	v_and_b32_e32 v14, 0xff, v14
	v_and_b32_e32 v15, 0xff, v15
	v_lshrrev_b32_e32 v17, 8, v2
	v_lshrrev_b32_e32 v16, 16, v2
	;; [unrolled: 1-line block ×3, first 2 shown]
	v_cmp_ne_u16_e32 vcc_lo, 0, v14
	v_add_nc_u32_e32 v13, 0x100, v13
	v_and_b32_e32 v17, 0xff, v17
	s_add_i32 s6, s6, -1
	s_delay_alu instid0(SALU_CYCLE_1) | instskip(SKIP_4) | instid1(VALU_DEP_4)
	s_cmp_eq_u32 s6, 0
	v_cndmask_b32_e64 v14, 0, 1, vcc_lo
	v_cmp_ne_u16_e32 vcc_lo, 0, v15
	v_cndmask_b32_e64 v15, 0, 1, vcc_lo
	v_cmp_ne_u16_e32 vcc_lo, 0, v18
	v_add_co_ci_u32_e32 v14, vcc_lo, 0, v14, vcc_lo
	v_cmp_ne_u16_e32 vcc_lo, 0, v19
	v_cndmask_b32_e64 v18, 0, 1, vcc_lo
	v_cmp_ne_u16_e32 vcc_lo, 0, v1
	s_delay_alu instid0(VALU_DEP_4)
	v_add_co_ci_u32_e32 v1, vcc_lo, v14, v15, vcc_lo
	v_cmp_ne_u16_e32 vcc_lo, 0, v17
	v_and_b32_e32 v14, 0xff, v16
	v_and_b32_e32 v15, 0xff, v3
	v_lshrrev_b32_e32 v16, 8, v3
	v_add_co_ci_u32_e32 v1, vcc_lo, v1, v18, vcc_lo
	s_delay_alu instid0(VALU_DEP_4) | instskip(SKIP_4) | instid1(VALU_DEP_4)
	v_cmp_ne_u16_e32 vcc_lo, 0, v14
	v_cndmask_b32_e64 v14, 0, 1, vcc_lo
	v_cmp_ne_u16_e32 vcc_lo, 0, v2
	v_lshrrev_b32_e32 v2, 16, v3
	v_lshrrev_b32_e32 v3, 24, v3
	v_add_co_ci_u32_e32 v1, vcc_lo, v1, v14, vcc_lo
	v_and_b32_e32 v14, 0xff, v16
	v_cmp_ne_u16_e32 vcc_lo, 0, v15
	v_and_b32_e32 v2, 0xff, v2
	v_lshrrev_b32_e32 v16, 16, v4
	v_cndmask_b32_e64 v15, 0, 1, vcc_lo
	v_cmp_ne_u16_e32 vcc_lo, 0, v14
	v_lshrrev_b32_e32 v14, 8, v4
	s_delay_alu instid0(VALU_DEP_3) | instskip(SKIP_4) | instid1(VALU_DEP_2)
	v_add_co_ci_u32_e32 v1, vcc_lo, v1, v15, vcc_lo
	v_cmp_ne_u16_e32 vcc_lo, 0, v2
	v_and_b32_e32 v15, 0xff, v4
	v_cndmask_b32_e64 v2, 0, 1, vcc_lo
	v_cmp_ne_u16_e32 vcc_lo, 0, v3
	v_add_co_ci_u32_e32 v1, vcc_lo, v1, v2, vcc_lo
	v_and_b32_e32 v2, 0xff, v14
	v_cmp_ne_u16_e32 vcc_lo, 0, v15
	v_and_b32_e32 v14, 0xff, v16
	v_cndmask_b32_e64 v3, 0, 1, vcc_lo
	s_delay_alu instid0(VALU_DEP_4) | instskip(SKIP_1) | instid1(VALU_DEP_3)
	v_cmp_ne_u16_e32 vcc_lo, 0, v2
	v_lshrrev_b32_e32 v2, 24, v4
	v_add_co_ci_u32_e32 v1, vcc_lo, v1, v3, vcc_lo
	v_cmp_ne_u16_e32 vcc_lo, 0, v14
	v_cndmask_b32_e64 v3, 0, 1, vcc_lo
	s_delay_alu instid0(VALU_DEP_4) | instskip(NEXT) | instid1(VALU_DEP_2)
	v_cmp_ne_u16_e32 vcc_lo, 0, v2
	v_add_co_ci_u32_e32 v1, vcc_lo, v1, v3, vcc_lo
	v_add_co_u32 v5, vcc_lo, 0x1000, v5
	v_add_co_ci_u32_e32 v6, vcc_lo, 0, v6, vcc_lo
	ds_bpermute_b32 v2, v8, v1
	s_waitcnt lgkmcnt(0)
	v_add_nc_u32_e32 v1, v1, v2
	ds_bpermute_b32 v2, v9, v1
	s_waitcnt lgkmcnt(0)
	v_add_nc_u32_e32 v1, v1, v2
	;; [unrolled: 3-line block ×4, first 2 shown]
	ds_bpermute_b32 v2, v12, v1
	s_waitcnt lgkmcnt(0)
	v_add3_u32 v7, v2, v7, v1
	s_cbranch_scc1 .LBB62_7
.LBB62_5:                               ; =>This Inner Loop Header: Depth=1
	v_dual_mov_b32 v1, 0 :: v_dual_mov_b32 v2, 0
	v_dual_mov_b32 v3, 0 :: v_dual_mov_b32 v4, 0
	s_mov_b32 s0, exec_lo
	v_cmpx_gt_i32_e64 s5, v13
	s_cbranch_execz .LBB62_4
; %bb.6:                                ;   in Loop: Header=BB62_5 Depth=1
	global_load_b128 v[1:4], v[5:6], off
	s_branch .LBB62_4
.LBB62_7:
	v_and_b32_e32 v1, 31, v0
	s_waitcnt lgkmcnt(0)
	s_mov_b32 s0, exec_lo
	s_delay_alu instid0(VALU_DEP_1)
	v_cmpx_eq_u32_e32 0, v1
	s_cbranch_execz .LBB62_9
; %bb.8:
	v_lshrrev_b32_e32 v1, 3, v0
	ds_store_b32 v1, v7
.LBB62_9:
	s_or_b32 exec_lo, exec_lo, s0
	s_waitcnt lgkmcnt(0)
	s_barrier
	buffer_gl0_inv
	s_mov_b32 s0, exec_lo
	v_cmpx_eq_u32_e32 0, v0
	s_cbranch_execz .LBB62_11
; %bb.10:
	v_mov_b32_e32 v8, 0
	s_ashr_i32 s5, s4, 31
	ds_load_b128 v[0:3], v8
	ds_load_b128 v[4:7], v8 offset:16
	s_lshl_b64 s[0:1], s[4:5], 2
	s_delay_alu instid0(SALU_CYCLE_1) | instskip(SKIP_3) | instid1(VALU_DEP_1)
	s_add_u32 s0, s2, s0
	s_addc_u32 s1, s3, s1
	s_waitcnt lgkmcnt(1)
	v_add_nc_u32_e32 v0, v1, v0
	v_add_nc_u32_e32 v0, v0, v2
	s_delay_alu instid0(VALU_DEP_1) | instskip(SKIP_1) | instid1(VALU_DEP_1)
	v_add_nc_u32_e32 v0, v0, v3
	s_waitcnt lgkmcnt(0)
	v_add_nc_u32_e32 v0, v0, v4
	s_delay_alu instid0(VALU_DEP_1) | instskip(NEXT) | instid1(VALU_DEP_1)
	v_add_nc_u32_e32 v0, v0, v5
	v_add_nc_u32_e32 v0, v0, v6
	s_delay_alu instid0(VALU_DEP_1)
	v_add_nc_u32_e32 v0, v0, v7
	global_store_b32 v8, v0, s[0:1]
.LBB62_11:
	s_nop 0
	s_sendmsg sendmsg(MSG_DEALLOC_VGPRS)
	s_endpgm
	.section	.rodata,"a",@progbits
	.p2align	6, 0x0
	.amdhsa_kernel _ZN5aiter22opus_moe_sorting_entryINS_29MoeSortingMultiPhaseKernel_P1INS_19MoeSortingProblemMpIifhLi16ELb0ELb0ELb1EEEEENS4_5KargsEEEvT0_
		.amdhsa_group_segment_fixed_size 32
		.amdhsa_private_segment_fixed_size 0
		.amdhsa_kernarg_size 40
		.amdhsa_user_sgpr_count 15
		.amdhsa_user_sgpr_dispatch_ptr 0
		.amdhsa_user_sgpr_queue_ptr 0
		.amdhsa_user_sgpr_kernarg_segment_ptr 1
		.amdhsa_user_sgpr_dispatch_id 0
		.amdhsa_user_sgpr_private_segment_size 0
		.amdhsa_wavefront_size32 1
		.amdhsa_uses_dynamic_stack 0
		.amdhsa_enable_private_segment 0
		.amdhsa_system_sgpr_workgroup_id_x 1
		.amdhsa_system_sgpr_workgroup_id_y 0
		.amdhsa_system_sgpr_workgroup_id_z 0
		.amdhsa_system_sgpr_workgroup_info 0
		.amdhsa_system_vgpr_workitem_id 0
		.amdhsa_next_free_vgpr 20
		.amdhsa_next_free_sgpr 16
		.amdhsa_reserve_vcc 1
		.amdhsa_float_round_mode_32 0
		.amdhsa_float_round_mode_16_64 0
		.amdhsa_float_denorm_mode_32 3
		.amdhsa_float_denorm_mode_16_64 3
		.amdhsa_dx10_clamp 1
		.amdhsa_ieee_mode 1
		.amdhsa_fp16_overflow 0
		.amdhsa_workgroup_processor_mode 1
		.amdhsa_memory_ordered 1
		.amdhsa_forward_progress 0
		.amdhsa_shared_vgpr_count 0
		.amdhsa_exception_fp_ieee_invalid_op 0
		.amdhsa_exception_fp_denorm_src 0
		.amdhsa_exception_fp_ieee_div_zero 0
		.amdhsa_exception_fp_ieee_overflow 0
		.amdhsa_exception_fp_ieee_underflow 0
		.amdhsa_exception_fp_ieee_inexact 0
		.amdhsa_exception_int_div_zero 0
	.end_amdhsa_kernel
	.section	.text._ZN5aiter22opus_moe_sorting_entryINS_29MoeSortingMultiPhaseKernel_P1INS_19MoeSortingProblemMpIifhLi16ELb0ELb0ELb1EEEEENS4_5KargsEEEvT0_,"axG",@progbits,_ZN5aiter22opus_moe_sorting_entryINS_29MoeSortingMultiPhaseKernel_P1INS_19MoeSortingProblemMpIifhLi16ELb0ELb0ELb1EEEEENS4_5KargsEEEvT0_,comdat
.Lfunc_end62:
	.size	_ZN5aiter22opus_moe_sorting_entryINS_29MoeSortingMultiPhaseKernel_P1INS_19MoeSortingProblemMpIifhLi16ELb0ELb0ELb1EEEEENS4_5KargsEEEvT0_, .Lfunc_end62-_ZN5aiter22opus_moe_sorting_entryINS_29MoeSortingMultiPhaseKernel_P1INS_19MoeSortingProblemMpIifhLi16ELb0ELb0ELb1EEEEENS4_5KargsEEEvT0_
                                        ; -- End function
	.section	.AMDGPU.csdata,"",@progbits
; Kernel info:
; codeLenInByte = 856
; NumSgprs: 18
; NumVgprs: 20
; ScratchSize: 0
; MemoryBound: 0
; FloatMode: 240
; IeeeMode: 1
; LDSByteSize: 32 bytes/workgroup (compile time only)
; SGPRBlocks: 2
; VGPRBlocks: 2
; NumSGPRsForWavesPerEU: 18
; NumVGPRsForWavesPerEU: 20
; Occupancy: 16
; WaveLimiterHint : 0
; COMPUTE_PGM_RSRC2:SCRATCH_EN: 0
; COMPUTE_PGM_RSRC2:USER_SGPR: 15
; COMPUTE_PGM_RSRC2:TRAP_HANDLER: 0
; COMPUTE_PGM_RSRC2:TGID_X_EN: 1
; COMPUTE_PGM_RSRC2:TGID_Y_EN: 0
; COMPUTE_PGM_RSRC2:TGID_Z_EN: 0
; COMPUTE_PGM_RSRC2:TIDIG_COMP_CNT: 0
	.section	.text._ZN5aiter22opus_moe_sorting_entryINS_32MoeSortingMultiPhaseKernel_P0_v1INS_19MoeSortingProblemMpIifhLi1ELb1ELb1ELb1EEEEENS4_5KargsEEEvT0_,"axG",@progbits,_ZN5aiter22opus_moe_sorting_entryINS_32MoeSortingMultiPhaseKernel_P0_v1INS_19MoeSortingProblemMpIifhLi1ELb1ELb1ELb1EEEEENS4_5KargsEEEvT0_,comdat
	.protected	_ZN5aiter22opus_moe_sorting_entryINS_32MoeSortingMultiPhaseKernel_P0_v1INS_19MoeSortingProblemMpIifhLi1ELb1ELb1ELb1EEEEENS4_5KargsEEEvT0_ ; -- Begin function _ZN5aiter22opus_moe_sorting_entryINS_32MoeSortingMultiPhaseKernel_P0_v1INS_19MoeSortingProblemMpIifhLi1ELb1ELb1ELb1EEEEENS4_5KargsEEEvT0_
	.globl	_ZN5aiter22opus_moe_sorting_entryINS_32MoeSortingMultiPhaseKernel_P0_v1INS_19MoeSortingProblemMpIifhLi1ELb1ELb1ELb1EEEEENS4_5KargsEEEvT0_
	.p2align	8
	.type	_ZN5aiter22opus_moe_sorting_entryINS_32MoeSortingMultiPhaseKernel_P0_v1INS_19MoeSortingProblemMpIifhLi1ELb1ELb1ELb1EEEEENS4_5KargsEEEvT0_,@function
_ZN5aiter22opus_moe_sorting_entryINS_32MoeSortingMultiPhaseKernel_P0_v1INS_19MoeSortingProblemMpIifhLi1ELb1ELb1ELb1EEEEENS4_5KargsEEEvT0_: ; @_ZN5aiter22opus_moe_sorting_entryINS_32MoeSortingMultiPhaseKernel_P0_v1INS_19MoeSortingProblemMpIifhLi1ELb1ELb1ELb1EEEEENS4_5KargsEEEvT0_
; %bb.0:
	s_clause 0x1
	s_load_b128 s[4:7], s[0:1], 0x0
	s_load_b32 s13, s[0:1], 0x24
	v_lshl_add_u32 v0, s15, 8, v0
	s_mov_b32 s2, exec_lo
	s_waitcnt lgkmcnt(0)
	s_load_b32 s8, s[6:7], 0x0
	s_waitcnt lgkmcnt(0)
	s_mul_i32 s9, s8, s13
	s_delay_alu instid0(SALU_CYCLE_1)
	v_cmpx_gt_i32_e64 s9, v0
	s_cbranch_execz .LBB63_5
; %bb.1:
	s_clause 0x3
	s_load_b32 s12, s[0:1], 0x30
	s_load_b64 s[2:3], s[0:1], 0x10
	s_load_b32 s10, s[0:1], 0x1c
	s_load_b64 s[6:7], s[0:1], 0x28
	s_add_i32 s0, s8, 31
	s_sub_i32 s13, 0, s13
	s_ashr_i32 s1, s0, 31
	s_delay_alu instid0(SALU_CYCLE_1) | instskip(NEXT) | instid1(SALU_CYCLE_1)
	s_lshr_b32 s1, s1, 27
	s_add_i32 s11, s0, s1
	s_mov_b32 s1, 0
	s_and_not1_b32 s11, s11, 31
	s_waitcnt lgkmcnt(0)
	s_lshl_b32 s12, s12, 8
	s_set_inst_prefetch_distance 0x1
	s_branch .LBB63_3
	.p2align	6
.LBB63_2:                               ;   in Loop: Header=BB63_3 Depth=1
	s_or_b32 exec_lo, exec_lo, s0
	v_add_nc_u32_e32 v0, s12, v0
	s_delay_alu instid0(VALU_DEP_1) | instskip(SKIP_1) | instid1(SALU_CYCLE_1)
	v_cmp_le_i32_e32 vcc_lo, s9, v0
	s_or_b32 s1, vcc_lo, s1
	s_and_not1_b32 exec_lo, exec_lo, s1
	s_cbranch_execz .LBB63_5
.LBB63_3:                               ; =>This Inner Loop Header: Depth=1
	v_ashrrev_i32_e32 v1, 31, v0
	s_delay_alu instid0(VALU_DEP_1) | instskip(NEXT) | instid1(VALU_DEP_1)
	v_lshlrev_b64 v[1:2], 2, v[0:1]
	v_add_co_u32 v1, vcc_lo, s4, v1
	s_delay_alu instid0(VALU_DEP_2) | instskip(SKIP_2) | instid1(VALU_DEP_1)
	v_add_co_ci_u32_e32 v2, vcc_lo, s5, v2, vcc_lo
	global_load_b32 v2, v[1:2], off
	v_mul_hi_u32 v1, s6, v0
	v_add_nc_u32_e32 v1, v0, v1
	s_delay_alu instid0(VALU_DEP_1) | instskip(NEXT) | instid1(VALU_DEP_1)
	v_lshrrev_b32_e32 v1, s7, v1
	v_cmp_gt_i32_e64 s0, s8, v1
	s_waitcnt vmcnt(0)
	v_cmp_gt_i32_e32 vcc_lo, s10, v2
	s_delay_alu instid0(VALU_DEP_2) | instskip(NEXT) | instid1(SALU_CYCLE_1)
	s_and_b32 s14, vcc_lo, s0
	s_and_saveexec_b32 s0, s14
	s_cbranch_execz .LBB63_2
; %bb.4:                                ;   in Loop: Header=BB63_3 Depth=1
	v_mad_u64_u32 v[3:4], null, s13, v1, v[0:1]
	v_mad_u64_u32 v[4:5], null, s11, v2, v[1:2]
	s_delay_alu instid0(VALU_DEP_2)
	v_add_nc_u16 v1, v3, 1
	global_store_b8 v4, v1, s[2:3]
	s_branch .LBB63_2
.LBB63_5:
	s_set_inst_prefetch_distance 0x2
	s_nop 0
	s_sendmsg sendmsg(MSG_DEALLOC_VGPRS)
	s_endpgm
	.section	.rodata,"a",@progbits
	.p2align	6, 0x0
	.amdhsa_kernel _ZN5aiter22opus_moe_sorting_entryINS_32MoeSortingMultiPhaseKernel_P0_v1INS_19MoeSortingProblemMpIifhLi1ELb1ELb1ELb1EEEEENS4_5KargsEEEvT0_
		.amdhsa_group_segment_fixed_size 0
		.amdhsa_private_segment_fixed_size 0
		.amdhsa_kernarg_size 304
		.amdhsa_user_sgpr_count 15
		.amdhsa_user_sgpr_dispatch_ptr 0
		.amdhsa_user_sgpr_queue_ptr 0
		.amdhsa_user_sgpr_kernarg_segment_ptr 1
		.amdhsa_user_sgpr_dispatch_id 0
		.amdhsa_user_sgpr_private_segment_size 0
		.amdhsa_wavefront_size32 1
		.amdhsa_uses_dynamic_stack 0
		.amdhsa_enable_private_segment 0
		.amdhsa_system_sgpr_workgroup_id_x 1
		.amdhsa_system_sgpr_workgroup_id_y 0
		.amdhsa_system_sgpr_workgroup_id_z 0
		.amdhsa_system_sgpr_workgroup_info 0
		.amdhsa_system_vgpr_workitem_id 0
		.amdhsa_next_free_vgpr 6
		.amdhsa_next_free_sgpr 16
		.amdhsa_reserve_vcc 1
		.amdhsa_float_round_mode_32 0
		.amdhsa_float_round_mode_16_64 0
		.amdhsa_float_denorm_mode_32 3
		.amdhsa_float_denorm_mode_16_64 3
		.amdhsa_dx10_clamp 1
		.amdhsa_ieee_mode 1
		.amdhsa_fp16_overflow 0
		.amdhsa_workgroup_processor_mode 1
		.amdhsa_memory_ordered 1
		.amdhsa_forward_progress 0
		.amdhsa_shared_vgpr_count 0
		.amdhsa_exception_fp_ieee_invalid_op 0
		.amdhsa_exception_fp_denorm_src 0
		.amdhsa_exception_fp_ieee_div_zero 0
		.amdhsa_exception_fp_ieee_overflow 0
		.amdhsa_exception_fp_ieee_underflow 0
		.amdhsa_exception_fp_ieee_inexact 0
		.amdhsa_exception_int_div_zero 0
	.end_amdhsa_kernel
	.section	.text._ZN5aiter22opus_moe_sorting_entryINS_32MoeSortingMultiPhaseKernel_P0_v1INS_19MoeSortingProblemMpIifhLi1ELb1ELb1ELb1EEEEENS4_5KargsEEEvT0_,"axG",@progbits,_ZN5aiter22opus_moe_sorting_entryINS_32MoeSortingMultiPhaseKernel_P0_v1INS_19MoeSortingProblemMpIifhLi1ELb1ELb1ELb1EEEEENS4_5KargsEEEvT0_,comdat
.Lfunc_end63:
	.size	_ZN5aiter22opus_moe_sorting_entryINS_32MoeSortingMultiPhaseKernel_P0_v1INS_19MoeSortingProblemMpIifhLi1ELb1ELb1ELb1EEEEENS4_5KargsEEEvT0_, .Lfunc_end63-_ZN5aiter22opus_moe_sorting_entryINS_32MoeSortingMultiPhaseKernel_P0_v1INS_19MoeSortingProblemMpIifhLi1ELb1ELb1ELb1EEEEENS4_5KargsEEEvT0_
                                        ; -- End function
	.section	.AMDGPU.csdata,"",@progbits
; Kernel info:
; codeLenInByte = 328
; NumSgprs: 18
; NumVgprs: 6
; ScratchSize: 0
; MemoryBound: 0
; FloatMode: 240
; IeeeMode: 1
; LDSByteSize: 0 bytes/workgroup (compile time only)
; SGPRBlocks: 2
; VGPRBlocks: 0
; NumSGPRsForWavesPerEU: 18
; NumVGPRsForWavesPerEU: 6
; Occupancy: 16
; WaveLimiterHint : 1
; COMPUTE_PGM_RSRC2:SCRATCH_EN: 0
; COMPUTE_PGM_RSRC2:USER_SGPR: 15
; COMPUTE_PGM_RSRC2:TRAP_HANDLER: 0
; COMPUTE_PGM_RSRC2:TGID_X_EN: 1
; COMPUTE_PGM_RSRC2:TGID_Y_EN: 0
; COMPUTE_PGM_RSRC2:TGID_Z_EN: 0
; COMPUTE_PGM_RSRC2:TIDIG_COMP_CNT: 0
	.section	.text._ZN5aiter22opus_moe_sorting_entryINS_32MoeSortingMultiPhaseKernel_P0_v1INS_19MoeSortingProblemMpIifhLi1ELb1ELb0ELb1EEEEENS4_5KargsEEEvT0_,"axG",@progbits,_ZN5aiter22opus_moe_sorting_entryINS_32MoeSortingMultiPhaseKernel_P0_v1INS_19MoeSortingProblemMpIifhLi1ELb1ELb0ELb1EEEEENS4_5KargsEEEvT0_,comdat
	.protected	_ZN5aiter22opus_moe_sorting_entryINS_32MoeSortingMultiPhaseKernel_P0_v1INS_19MoeSortingProblemMpIifhLi1ELb1ELb0ELb1EEEEENS4_5KargsEEEvT0_ ; -- Begin function _ZN5aiter22opus_moe_sorting_entryINS_32MoeSortingMultiPhaseKernel_P0_v1INS_19MoeSortingProblemMpIifhLi1ELb1ELb0ELb1EEEEENS4_5KargsEEEvT0_
	.globl	_ZN5aiter22opus_moe_sorting_entryINS_32MoeSortingMultiPhaseKernel_P0_v1INS_19MoeSortingProblemMpIifhLi1ELb1ELb0ELb1EEEEENS4_5KargsEEEvT0_
	.p2align	8
	.type	_ZN5aiter22opus_moe_sorting_entryINS_32MoeSortingMultiPhaseKernel_P0_v1INS_19MoeSortingProblemMpIifhLi1ELb1ELb0ELb1EEEEENS4_5KargsEEEvT0_,@function
_ZN5aiter22opus_moe_sorting_entryINS_32MoeSortingMultiPhaseKernel_P0_v1INS_19MoeSortingProblemMpIifhLi1ELb1ELb0ELb1EEEEENS4_5KargsEEEvT0_: ; @_ZN5aiter22opus_moe_sorting_entryINS_32MoeSortingMultiPhaseKernel_P0_v1INS_19MoeSortingProblemMpIifhLi1ELb1ELb0ELb1EEEEENS4_5KargsEEEvT0_
; %bb.0:
	s_load_b128 s[4:7], s[0:1], 0x18
	v_lshl_add_u32 v0, s15, 8, v0
	s_mov_b32 s2, exec_lo
	s_waitcnt lgkmcnt(0)
	s_mul_i32 s4, s7, s4
	s_delay_alu instid0(VALU_DEP_1) | instid1(SALU_CYCLE_1)
	v_cmpx_gt_i32_e64 s4, v0
	s_cbranch_execz .LBB64_5
; %bb.1:
	s_clause 0x3
	s_load_b32 s11, s[0:1], 0x30
	s_load_b64 s[2:3], s[0:1], 0x0
	s_load_b64 s[8:9], s[0:1], 0x10
	;; [unrolled: 1-line block ×3, first 2 shown]
	s_mov_b32 s10, 0
	s_sub_i32 s7, 0, s7
	s_waitcnt lgkmcnt(0)
	s_lshl_b32 s11, s11, 8
	s_set_inst_prefetch_distance 0x1
	s_branch .LBB64_3
	.p2align	6
.LBB64_2:                               ;   in Loop: Header=BB64_3 Depth=1
	s_or_b32 exec_lo, exec_lo, s12
	v_add_nc_u32_e32 v0, s11, v0
	s_delay_alu instid0(VALU_DEP_1) | instskip(SKIP_1) | instid1(SALU_CYCLE_1)
	v_cmp_le_i32_e32 vcc_lo, s4, v0
	s_or_b32 s10, vcc_lo, s10
	s_and_not1_b32 exec_lo, exec_lo, s10
	s_cbranch_execz .LBB64_5
.LBB64_3:                               ; =>This Inner Loop Header: Depth=1
	v_ashrrev_i32_e32 v1, 31, v0
	s_mov_b32 s12, exec_lo
	s_delay_alu instid0(VALU_DEP_1) | instskip(NEXT) | instid1(VALU_DEP_1)
	v_lshlrev_b64 v[1:2], 2, v[0:1]
	v_add_co_u32 v1, vcc_lo, s2, v1
	s_delay_alu instid0(VALU_DEP_2)
	v_add_co_ci_u32_e32 v2, vcc_lo, s3, v2, vcc_lo
	global_load_b32 v1, v[1:2], off
	s_waitcnt vmcnt(0)
	v_cmpx_gt_i32_e64 s5, v1
	s_cbranch_execz .LBB64_2
; %bb.4:                                ;   in Loop: Header=BB64_3 Depth=1
	v_mul_hi_u32 v2, s0, v0
	s_delay_alu instid0(VALU_DEP_1) | instskip(NEXT) | instid1(VALU_DEP_1)
	v_add_nc_u32_e32 v2, v0, v2
	v_lshrrev_b32_e32 v2, s1, v2
	s_delay_alu instid0(VALU_DEP_1) | instskip(NEXT) | instid1(VALU_DEP_1)
	v_mad_u64_u32 v[3:4], null, s7, v2, v[0:1]
	v_mad_u64_u32 v[4:5], null, v1, s6, v[2:3]
	v_add_nc_u16 v1, v3, 1
	global_store_b8 v4, v1, s[8:9]
	s_branch .LBB64_2
.LBB64_5:
	s_set_inst_prefetch_distance 0x2
	s_nop 0
	s_sendmsg sendmsg(MSG_DEALLOC_VGPRS)
	s_endpgm
	.section	.rodata,"a",@progbits
	.p2align	6, 0x0
	.amdhsa_kernel _ZN5aiter22opus_moe_sorting_entryINS_32MoeSortingMultiPhaseKernel_P0_v1INS_19MoeSortingProblemMpIifhLi1ELb1ELb0ELb1EEEEENS4_5KargsEEEvT0_
		.amdhsa_group_segment_fixed_size 0
		.amdhsa_private_segment_fixed_size 0
		.amdhsa_kernarg_size 304
		.amdhsa_user_sgpr_count 15
		.amdhsa_user_sgpr_dispatch_ptr 0
		.amdhsa_user_sgpr_queue_ptr 0
		.amdhsa_user_sgpr_kernarg_segment_ptr 1
		.amdhsa_user_sgpr_dispatch_id 0
		.amdhsa_user_sgpr_private_segment_size 0
		.amdhsa_wavefront_size32 1
		.amdhsa_uses_dynamic_stack 0
		.amdhsa_enable_private_segment 0
		.amdhsa_system_sgpr_workgroup_id_x 1
		.amdhsa_system_sgpr_workgroup_id_y 0
		.amdhsa_system_sgpr_workgroup_id_z 0
		.amdhsa_system_sgpr_workgroup_info 0
		.amdhsa_system_vgpr_workitem_id 0
		.amdhsa_next_free_vgpr 6
		.amdhsa_next_free_sgpr 16
		.amdhsa_reserve_vcc 1
		.amdhsa_float_round_mode_32 0
		.amdhsa_float_round_mode_16_64 0
		.amdhsa_float_denorm_mode_32 3
		.amdhsa_float_denorm_mode_16_64 3
		.amdhsa_dx10_clamp 1
		.amdhsa_ieee_mode 1
		.amdhsa_fp16_overflow 0
		.amdhsa_workgroup_processor_mode 1
		.amdhsa_memory_ordered 1
		.amdhsa_forward_progress 0
		.amdhsa_shared_vgpr_count 0
		.amdhsa_exception_fp_ieee_invalid_op 0
		.amdhsa_exception_fp_denorm_src 0
		.amdhsa_exception_fp_ieee_div_zero 0
		.amdhsa_exception_fp_ieee_overflow 0
		.amdhsa_exception_fp_ieee_underflow 0
		.amdhsa_exception_fp_ieee_inexact 0
		.amdhsa_exception_int_div_zero 0
	.end_amdhsa_kernel
	.section	.text._ZN5aiter22opus_moe_sorting_entryINS_32MoeSortingMultiPhaseKernel_P0_v1INS_19MoeSortingProblemMpIifhLi1ELb1ELb0ELb1EEEEENS4_5KargsEEEvT0_,"axG",@progbits,_ZN5aiter22opus_moe_sorting_entryINS_32MoeSortingMultiPhaseKernel_P0_v1INS_19MoeSortingProblemMpIifhLi1ELb1ELb0ELb1EEEEENS4_5KargsEEEvT0_,comdat
.Lfunc_end64:
	.size	_ZN5aiter22opus_moe_sorting_entryINS_32MoeSortingMultiPhaseKernel_P0_v1INS_19MoeSortingProblemMpIifhLi1ELb1ELb0ELb1EEEEENS4_5KargsEEEvT0_, .Lfunc_end64-_ZN5aiter22opus_moe_sorting_entryINS_32MoeSortingMultiPhaseKernel_P0_v1INS_19MoeSortingProblemMpIifhLi1ELb1ELb0ELb1EEEEENS4_5KargsEEEvT0_
                                        ; -- End function
	.section	.AMDGPU.csdata,"",@progbits
; Kernel info:
; codeLenInByte = 268
; NumSgprs: 18
; NumVgprs: 6
; ScratchSize: 0
; MemoryBound: 0
; FloatMode: 240
; IeeeMode: 1
; LDSByteSize: 0 bytes/workgroup (compile time only)
; SGPRBlocks: 2
; VGPRBlocks: 0
; NumSGPRsForWavesPerEU: 18
; NumVGPRsForWavesPerEU: 6
; Occupancy: 16
; WaveLimiterHint : 1
; COMPUTE_PGM_RSRC2:SCRATCH_EN: 0
; COMPUTE_PGM_RSRC2:USER_SGPR: 15
; COMPUTE_PGM_RSRC2:TRAP_HANDLER: 0
; COMPUTE_PGM_RSRC2:TGID_X_EN: 1
; COMPUTE_PGM_RSRC2:TGID_Y_EN: 0
; COMPUTE_PGM_RSRC2:TGID_Z_EN: 0
; COMPUTE_PGM_RSRC2:TIDIG_COMP_CNT: 0
	.section	.text._ZN5aiter22opus_moe_sorting_entryINS_32MoeSortingMultiPhaseKernel_P0_v1INS_19MoeSortingProblemMpIifhLi1ELb0ELb1ELb1EEEEENS4_5KargsEEEvT0_,"axG",@progbits,_ZN5aiter22opus_moe_sorting_entryINS_32MoeSortingMultiPhaseKernel_P0_v1INS_19MoeSortingProblemMpIifhLi1ELb0ELb1ELb1EEEEENS4_5KargsEEEvT0_,comdat
	.protected	_ZN5aiter22opus_moe_sorting_entryINS_32MoeSortingMultiPhaseKernel_P0_v1INS_19MoeSortingProblemMpIifhLi1ELb0ELb1ELb1EEEEENS4_5KargsEEEvT0_ ; -- Begin function _ZN5aiter22opus_moe_sorting_entryINS_32MoeSortingMultiPhaseKernel_P0_v1INS_19MoeSortingProblemMpIifhLi1ELb0ELb1ELb1EEEEENS4_5KargsEEEvT0_
	.globl	_ZN5aiter22opus_moe_sorting_entryINS_32MoeSortingMultiPhaseKernel_P0_v1INS_19MoeSortingProblemMpIifhLi1ELb0ELb1ELb1EEEEENS4_5KargsEEEvT0_
	.p2align	8
	.type	_ZN5aiter22opus_moe_sorting_entryINS_32MoeSortingMultiPhaseKernel_P0_v1INS_19MoeSortingProblemMpIifhLi1ELb0ELb1ELb1EEEEENS4_5KargsEEEvT0_,@function
_ZN5aiter22opus_moe_sorting_entryINS_32MoeSortingMultiPhaseKernel_P0_v1INS_19MoeSortingProblemMpIifhLi1ELb0ELb1ELb1EEEEENS4_5KargsEEEvT0_: ; @_ZN5aiter22opus_moe_sorting_entryINS_32MoeSortingMultiPhaseKernel_P0_v1INS_19MoeSortingProblemMpIifhLi1ELb0ELb1ELb1EEEEENS4_5KargsEEEvT0_
; %bb.0:
	s_clause 0x1
	s_load_b128 s[4:7], s[0:1], 0x0
	s_load_b32 s13, s[0:1], 0x24
	v_lshl_add_u32 v0, s15, 8, v0
	s_mov_b32 s2, exec_lo
	s_waitcnt lgkmcnt(0)
	s_load_b32 s8, s[6:7], 0x0
	s_waitcnt lgkmcnt(0)
	s_mul_i32 s9, s8, s13
	s_delay_alu instid0(SALU_CYCLE_1)
	v_cmpx_gt_i32_e64 s9, v0
	s_cbranch_execz .LBB65_5
; %bb.1:
	s_clause 0x3
	s_load_b32 s12, s[0:1], 0x30
	s_load_b64 s[2:3], s[0:1], 0x10
	s_load_b32 s10, s[0:1], 0x1c
	s_load_b64 s[6:7], s[0:1], 0x28
	s_add_i32 s0, s8, 31
	s_sub_i32 s13, 0, s13
	s_ashr_i32 s1, s0, 31
	s_delay_alu instid0(SALU_CYCLE_1) | instskip(NEXT) | instid1(SALU_CYCLE_1)
	s_lshr_b32 s1, s1, 27
	s_add_i32 s11, s0, s1
	s_mov_b32 s1, 0
	s_and_not1_b32 s11, s11, 31
	s_waitcnt lgkmcnt(0)
	s_lshl_b32 s12, s12, 8
	s_set_inst_prefetch_distance 0x1
	s_branch .LBB65_3
	.p2align	6
.LBB65_2:                               ;   in Loop: Header=BB65_3 Depth=1
	s_or_b32 exec_lo, exec_lo, s0
	v_add_nc_u32_e32 v0, s12, v0
	s_delay_alu instid0(VALU_DEP_1) | instskip(SKIP_1) | instid1(SALU_CYCLE_1)
	v_cmp_le_i32_e32 vcc_lo, s9, v0
	s_or_b32 s1, vcc_lo, s1
	s_and_not1_b32 exec_lo, exec_lo, s1
	s_cbranch_execz .LBB65_5
.LBB65_3:                               ; =>This Inner Loop Header: Depth=1
	v_ashrrev_i32_e32 v1, 31, v0
	s_delay_alu instid0(VALU_DEP_1) | instskip(NEXT) | instid1(VALU_DEP_1)
	v_lshlrev_b64 v[1:2], 2, v[0:1]
	v_add_co_u32 v1, vcc_lo, s4, v1
	s_delay_alu instid0(VALU_DEP_2) | instskip(SKIP_2) | instid1(VALU_DEP_1)
	v_add_co_ci_u32_e32 v2, vcc_lo, s5, v2, vcc_lo
	global_load_b32 v2, v[1:2], off
	v_mul_hi_u32 v1, s6, v0
	v_add_nc_u32_e32 v1, v0, v1
	s_delay_alu instid0(VALU_DEP_1) | instskip(NEXT) | instid1(VALU_DEP_1)
	v_lshrrev_b32_e32 v1, s7, v1
	v_cmp_gt_i32_e64 s0, s8, v1
	s_waitcnt vmcnt(0)
	v_cmp_gt_i32_e32 vcc_lo, s10, v2
	s_delay_alu instid0(VALU_DEP_2) | instskip(NEXT) | instid1(SALU_CYCLE_1)
	s_and_b32 s14, vcc_lo, s0
	s_and_saveexec_b32 s0, s14
	s_cbranch_execz .LBB65_2
; %bb.4:                                ;   in Loop: Header=BB65_3 Depth=1
	v_mad_u64_u32 v[3:4], null, s13, v1, v[0:1]
	v_mad_u64_u32 v[4:5], null, s11, v2, v[1:2]
	s_delay_alu instid0(VALU_DEP_2)
	v_add_nc_u16 v1, v3, 1
	global_store_b8 v4, v1, s[2:3]
	s_branch .LBB65_2
.LBB65_5:
	s_set_inst_prefetch_distance 0x2
	s_nop 0
	s_sendmsg sendmsg(MSG_DEALLOC_VGPRS)
	s_endpgm
	.section	.rodata,"a",@progbits
	.p2align	6, 0x0
	.amdhsa_kernel _ZN5aiter22opus_moe_sorting_entryINS_32MoeSortingMultiPhaseKernel_P0_v1INS_19MoeSortingProblemMpIifhLi1ELb0ELb1ELb1EEEEENS4_5KargsEEEvT0_
		.amdhsa_group_segment_fixed_size 0
		.amdhsa_private_segment_fixed_size 0
		.amdhsa_kernarg_size 304
		.amdhsa_user_sgpr_count 15
		.amdhsa_user_sgpr_dispatch_ptr 0
		.amdhsa_user_sgpr_queue_ptr 0
		.amdhsa_user_sgpr_kernarg_segment_ptr 1
		.amdhsa_user_sgpr_dispatch_id 0
		.amdhsa_user_sgpr_private_segment_size 0
		.amdhsa_wavefront_size32 1
		.amdhsa_uses_dynamic_stack 0
		.amdhsa_enable_private_segment 0
		.amdhsa_system_sgpr_workgroup_id_x 1
		.amdhsa_system_sgpr_workgroup_id_y 0
		.amdhsa_system_sgpr_workgroup_id_z 0
		.amdhsa_system_sgpr_workgroup_info 0
		.amdhsa_system_vgpr_workitem_id 0
		.amdhsa_next_free_vgpr 6
		.amdhsa_next_free_sgpr 16
		.amdhsa_reserve_vcc 1
		.amdhsa_float_round_mode_32 0
		.amdhsa_float_round_mode_16_64 0
		.amdhsa_float_denorm_mode_32 3
		.amdhsa_float_denorm_mode_16_64 3
		.amdhsa_dx10_clamp 1
		.amdhsa_ieee_mode 1
		.amdhsa_fp16_overflow 0
		.amdhsa_workgroup_processor_mode 1
		.amdhsa_memory_ordered 1
		.amdhsa_forward_progress 0
		.amdhsa_shared_vgpr_count 0
		.amdhsa_exception_fp_ieee_invalid_op 0
		.amdhsa_exception_fp_denorm_src 0
		.amdhsa_exception_fp_ieee_div_zero 0
		.amdhsa_exception_fp_ieee_overflow 0
		.amdhsa_exception_fp_ieee_underflow 0
		.amdhsa_exception_fp_ieee_inexact 0
		.amdhsa_exception_int_div_zero 0
	.end_amdhsa_kernel
	.section	.text._ZN5aiter22opus_moe_sorting_entryINS_32MoeSortingMultiPhaseKernel_P0_v1INS_19MoeSortingProblemMpIifhLi1ELb0ELb1ELb1EEEEENS4_5KargsEEEvT0_,"axG",@progbits,_ZN5aiter22opus_moe_sorting_entryINS_32MoeSortingMultiPhaseKernel_P0_v1INS_19MoeSortingProblemMpIifhLi1ELb0ELb1ELb1EEEEENS4_5KargsEEEvT0_,comdat
.Lfunc_end65:
	.size	_ZN5aiter22opus_moe_sorting_entryINS_32MoeSortingMultiPhaseKernel_P0_v1INS_19MoeSortingProblemMpIifhLi1ELb0ELb1ELb1EEEEENS4_5KargsEEEvT0_, .Lfunc_end65-_ZN5aiter22opus_moe_sorting_entryINS_32MoeSortingMultiPhaseKernel_P0_v1INS_19MoeSortingProblemMpIifhLi1ELb0ELb1ELb1EEEEENS4_5KargsEEEvT0_
                                        ; -- End function
	.section	.AMDGPU.csdata,"",@progbits
; Kernel info:
; codeLenInByte = 328
; NumSgprs: 18
; NumVgprs: 6
; ScratchSize: 0
; MemoryBound: 0
; FloatMode: 240
; IeeeMode: 1
; LDSByteSize: 0 bytes/workgroup (compile time only)
; SGPRBlocks: 2
; VGPRBlocks: 0
; NumSGPRsForWavesPerEU: 18
; NumVGPRsForWavesPerEU: 6
; Occupancy: 16
; WaveLimiterHint : 1
; COMPUTE_PGM_RSRC2:SCRATCH_EN: 0
; COMPUTE_PGM_RSRC2:USER_SGPR: 15
; COMPUTE_PGM_RSRC2:TRAP_HANDLER: 0
; COMPUTE_PGM_RSRC2:TGID_X_EN: 1
; COMPUTE_PGM_RSRC2:TGID_Y_EN: 0
; COMPUTE_PGM_RSRC2:TGID_Z_EN: 0
; COMPUTE_PGM_RSRC2:TIDIG_COMP_CNT: 0
	.section	.text._ZN5aiter22opus_moe_sorting_entryINS_32MoeSortingMultiPhaseKernel_P0_v1INS_19MoeSortingProblemMpIifhLi1ELb0ELb0ELb1EEEEENS4_5KargsEEEvT0_,"axG",@progbits,_ZN5aiter22opus_moe_sorting_entryINS_32MoeSortingMultiPhaseKernel_P0_v1INS_19MoeSortingProblemMpIifhLi1ELb0ELb0ELb1EEEEENS4_5KargsEEEvT0_,comdat
	.protected	_ZN5aiter22opus_moe_sorting_entryINS_32MoeSortingMultiPhaseKernel_P0_v1INS_19MoeSortingProblemMpIifhLi1ELb0ELb0ELb1EEEEENS4_5KargsEEEvT0_ ; -- Begin function _ZN5aiter22opus_moe_sorting_entryINS_32MoeSortingMultiPhaseKernel_P0_v1INS_19MoeSortingProblemMpIifhLi1ELb0ELb0ELb1EEEEENS4_5KargsEEEvT0_
	.globl	_ZN5aiter22opus_moe_sorting_entryINS_32MoeSortingMultiPhaseKernel_P0_v1INS_19MoeSortingProblemMpIifhLi1ELb0ELb0ELb1EEEEENS4_5KargsEEEvT0_
	.p2align	8
	.type	_ZN5aiter22opus_moe_sorting_entryINS_32MoeSortingMultiPhaseKernel_P0_v1INS_19MoeSortingProblemMpIifhLi1ELb0ELb0ELb1EEEEENS4_5KargsEEEvT0_,@function
_ZN5aiter22opus_moe_sorting_entryINS_32MoeSortingMultiPhaseKernel_P0_v1INS_19MoeSortingProblemMpIifhLi1ELb0ELb0ELb1EEEEENS4_5KargsEEEvT0_: ; @_ZN5aiter22opus_moe_sorting_entryINS_32MoeSortingMultiPhaseKernel_P0_v1INS_19MoeSortingProblemMpIifhLi1ELb0ELb0ELb1EEEEENS4_5KargsEEEvT0_
; %bb.0:
	s_load_b128 s[4:7], s[0:1], 0x18
	v_lshl_add_u32 v0, s15, 8, v0
	s_mov_b32 s2, exec_lo
	s_waitcnt lgkmcnt(0)
	s_mul_i32 s4, s7, s4
	s_delay_alu instid0(VALU_DEP_1) | instid1(SALU_CYCLE_1)
	v_cmpx_gt_i32_e64 s4, v0
	s_cbranch_execz .LBB66_5
; %bb.1:
	s_clause 0x3
	s_load_b32 s11, s[0:1], 0x30
	s_load_b64 s[2:3], s[0:1], 0x0
	s_load_b64 s[8:9], s[0:1], 0x10
	;; [unrolled: 1-line block ×3, first 2 shown]
	s_mov_b32 s10, 0
	s_sub_i32 s7, 0, s7
	s_waitcnt lgkmcnt(0)
	s_lshl_b32 s11, s11, 8
	s_set_inst_prefetch_distance 0x1
	s_branch .LBB66_3
	.p2align	6
.LBB66_2:                               ;   in Loop: Header=BB66_3 Depth=1
	s_or_b32 exec_lo, exec_lo, s12
	v_add_nc_u32_e32 v0, s11, v0
	s_delay_alu instid0(VALU_DEP_1) | instskip(SKIP_1) | instid1(SALU_CYCLE_1)
	v_cmp_le_i32_e32 vcc_lo, s4, v0
	s_or_b32 s10, vcc_lo, s10
	s_and_not1_b32 exec_lo, exec_lo, s10
	s_cbranch_execz .LBB66_5
.LBB66_3:                               ; =>This Inner Loop Header: Depth=1
	v_ashrrev_i32_e32 v1, 31, v0
	s_mov_b32 s12, exec_lo
	s_delay_alu instid0(VALU_DEP_1) | instskip(NEXT) | instid1(VALU_DEP_1)
	v_lshlrev_b64 v[1:2], 2, v[0:1]
	v_add_co_u32 v1, vcc_lo, s2, v1
	s_delay_alu instid0(VALU_DEP_2)
	v_add_co_ci_u32_e32 v2, vcc_lo, s3, v2, vcc_lo
	global_load_b32 v1, v[1:2], off
	s_waitcnt vmcnt(0)
	v_cmpx_gt_i32_e64 s5, v1
	s_cbranch_execz .LBB66_2
; %bb.4:                                ;   in Loop: Header=BB66_3 Depth=1
	v_mul_hi_u32 v2, s0, v0
	s_delay_alu instid0(VALU_DEP_1) | instskip(NEXT) | instid1(VALU_DEP_1)
	v_add_nc_u32_e32 v2, v0, v2
	v_lshrrev_b32_e32 v2, s1, v2
	s_delay_alu instid0(VALU_DEP_1) | instskip(NEXT) | instid1(VALU_DEP_1)
	v_mad_u64_u32 v[3:4], null, s7, v2, v[0:1]
	v_mad_u64_u32 v[4:5], null, v1, s6, v[2:3]
	v_add_nc_u16 v1, v3, 1
	global_store_b8 v4, v1, s[8:9]
	s_branch .LBB66_2
.LBB66_5:
	s_set_inst_prefetch_distance 0x2
	s_nop 0
	s_sendmsg sendmsg(MSG_DEALLOC_VGPRS)
	s_endpgm
	.section	.rodata,"a",@progbits
	.p2align	6, 0x0
	.amdhsa_kernel _ZN5aiter22opus_moe_sorting_entryINS_32MoeSortingMultiPhaseKernel_P0_v1INS_19MoeSortingProblemMpIifhLi1ELb0ELb0ELb1EEEEENS4_5KargsEEEvT0_
		.amdhsa_group_segment_fixed_size 0
		.amdhsa_private_segment_fixed_size 0
		.amdhsa_kernarg_size 304
		.amdhsa_user_sgpr_count 15
		.amdhsa_user_sgpr_dispatch_ptr 0
		.amdhsa_user_sgpr_queue_ptr 0
		.amdhsa_user_sgpr_kernarg_segment_ptr 1
		.amdhsa_user_sgpr_dispatch_id 0
		.amdhsa_user_sgpr_private_segment_size 0
		.amdhsa_wavefront_size32 1
		.amdhsa_uses_dynamic_stack 0
		.amdhsa_enable_private_segment 0
		.amdhsa_system_sgpr_workgroup_id_x 1
		.amdhsa_system_sgpr_workgroup_id_y 0
		.amdhsa_system_sgpr_workgroup_id_z 0
		.amdhsa_system_sgpr_workgroup_info 0
		.amdhsa_system_vgpr_workitem_id 0
		.amdhsa_next_free_vgpr 6
		.amdhsa_next_free_sgpr 16
		.amdhsa_reserve_vcc 1
		.amdhsa_float_round_mode_32 0
		.amdhsa_float_round_mode_16_64 0
		.amdhsa_float_denorm_mode_32 3
		.amdhsa_float_denorm_mode_16_64 3
		.amdhsa_dx10_clamp 1
		.amdhsa_ieee_mode 1
		.amdhsa_fp16_overflow 0
		.amdhsa_workgroup_processor_mode 1
		.amdhsa_memory_ordered 1
		.amdhsa_forward_progress 0
		.amdhsa_shared_vgpr_count 0
		.amdhsa_exception_fp_ieee_invalid_op 0
		.amdhsa_exception_fp_denorm_src 0
		.amdhsa_exception_fp_ieee_div_zero 0
		.amdhsa_exception_fp_ieee_overflow 0
		.amdhsa_exception_fp_ieee_underflow 0
		.amdhsa_exception_fp_ieee_inexact 0
		.amdhsa_exception_int_div_zero 0
	.end_amdhsa_kernel
	.section	.text._ZN5aiter22opus_moe_sorting_entryINS_32MoeSortingMultiPhaseKernel_P0_v1INS_19MoeSortingProblemMpIifhLi1ELb0ELb0ELb1EEEEENS4_5KargsEEEvT0_,"axG",@progbits,_ZN5aiter22opus_moe_sorting_entryINS_32MoeSortingMultiPhaseKernel_P0_v1INS_19MoeSortingProblemMpIifhLi1ELb0ELb0ELb1EEEEENS4_5KargsEEEvT0_,comdat
.Lfunc_end66:
	.size	_ZN5aiter22opus_moe_sorting_entryINS_32MoeSortingMultiPhaseKernel_P0_v1INS_19MoeSortingProblemMpIifhLi1ELb0ELb0ELb1EEEEENS4_5KargsEEEvT0_, .Lfunc_end66-_ZN5aiter22opus_moe_sorting_entryINS_32MoeSortingMultiPhaseKernel_P0_v1INS_19MoeSortingProblemMpIifhLi1ELb0ELb0ELb1EEEEENS4_5KargsEEEvT0_
                                        ; -- End function
	.section	.AMDGPU.csdata,"",@progbits
; Kernel info:
; codeLenInByte = 268
; NumSgprs: 18
; NumVgprs: 6
; ScratchSize: 0
; MemoryBound: 0
; FloatMode: 240
; IeeeMode: 1
; LDSByteSize: 0 bytes/workgroup (compile time only)
; SGPRBlocks: 2
; VGPRBlocks: 0
; NumSGPRsForWavesPerEU: 18
; NumVGPRsForWavesPerEU: 6
; Occupancy: 16
; WaveLimiterHint : 1
; COMPUTE_PGM_RSRC2:SCRATCH_EN: 0
; COMPUTE_PGM_RSRC2:USER_SGPR: 15
; COMPUTE_PGM_RSRC2:TRAP_HANDLER: 0
; COMPUTE_PGM_RSRC2:TGID_X_EN: 1
; COMPUTE_PGM_RSRC2:TGID_Y_EN: 0
; COMPUTE_PGM_RSRC2:TGID_Z_EN: 0
; COMPUTE_PGM_RSRC2:TIDIG_COMP_CNT: 0
	.section	.text._ZN5aiter22opus_moe_sorting_entryINS_32MoeSortingMultiPhaseKernel_P0_v1INS_19MoeSortingProblemMpIifiLi1ELb1ELb1ELb1EEEEENS4_5KargsEEEvT0_,"axG",@progbits,_ZN5aiter22opus_moe_sorting_entryINS_32MoeSortingMultiPhaseKernel_P0_v1INS_19MoeSortingProblemMpIifiLi1ELb1ELb1ELb1EEEEENS4_5KargsEEEvT0_,comdat
	.protected	_ZN5aiter22opus_moe_sorting_entryINS_32MoeSortingMultiPhaseKernel_P0_v1INS_19MoeSortingProblemMpIifiLi1ELb1ELb1ELb1EEEEENS4_5KargsEEEvT0_ ; -- Begin function _ZN5aiter22opus_moe_sorting_entryINS_32MoeSortingMultiPhaseKernel_P0_v1INS_19MoeSortingProblemMpIifiLi1ELb1ELb1ELb1EEEEENS4_5KargsEEEvT0_
	.globl	_ZN5aiter22opus_moe_sorting_entryINS_32MoeSortingMultiPhaseKernel_P0_v1INS_19MoeSortingProblemMpIifiLi1ELb1ELb1ELb1EEEEENS4_5KargsEEEvT0_
	.p2align	8
	.type	_ZN5aiter22opus_moe_sorting_entryINS_32MoeSortingMultiPhaseKernel_P0_v1INS_19MoeSortingProblemMpIifiLi1ELb1ELb1ELb1EEEEENS4_5KargsEEEvT0_,@function
_ZN5aiter22opus_moe_sorting_entryINS_32MoeSortingMultiPhaseKernel_P0_v1INS_19MoeSortingProblemMpIifiLi1ELb1ELb1ELb1EEEEENS4_5KargsEEEvT0_: ; @_ZN5aiter22opus_moe_sorting_entryINS_32MoeSortingMultiPhaseKernel_P0_v1INS_19MoeSortingProblemMpIifiLi1ELb1ELb1ELb1EEEEENS4_5KargsEEEvT0_
; %bb.0:
	s_clause 0x1
	s_load_b128 s[4:7], s[0:1], 0x0
	s_load_b32 s13, s[0:1], 0x24
	v_lshl_add_u32 v0, s15, 8, v0
	s_mov_b32 s2, exec_lo
	s_waitcnt lgkmcnt(0)
	s_load_b32 s8, s[6:7], 0x0
	s_waitcnt lgkmcnt(0)
	s_mul_i32 s9, s8, s13
	s_delay_alu instid0(SALU_CYCLE_1)
	v_cmpx_gt_i32_e64 s9, v0
	s_cbranch_execz .LBB67_5
; %bb.1:
	s_clause 0x3
	s_load_b32 s12, s[0:1], 0x30
	s_load_b64 s[2:3], s[0:1], 0x10
	s_load_b32 s10, s[0:1], 0x1c
	s_load_b64 s[6:7], s[0:1], 0x28
	s_add_i32 s0, s8, 31
	v_mov_b32_e32 v2, 0
	s_ashr_i32 s1, s0, 31
	s_sub_i32 s13, 0, s13
	s_lshr_b32 s11, s1, 27
	s_mov_b32 s1, 0
	s_add_i32 s11, s0, s11
	s_delay_alu instid0(SALU_CYCLE_1)
	s_and_not1_b32 s11, s11, 31
	s_waitcnt lgkmcnt(0)
	s_lshl_b32 s12, s12, 8
	s_set_inst_prefetch_distance 0x1
	s_branch .LBB67_3
	.p2align	6
.LBB67_2:                               ;   in Loop: Header=BB67_3 Depth=1
	s_or_b32 exec_lo, exec_lo, s0
	v_add_nc_u32_e32 v0, s12, v0
	s_delay_alu instid0(VALU_DEP_1) | instskip(SKIP_1) | instid1(SALU_CYCLE_1)
	v_cmp_le_i32_e32 vcc_lo, s9, v0
	s_or_b32 s1, vcc_lo, s1
	s_and_not1_b32 exec_lo, exec_lo, s1
	s_cbranch_execz .LBB67_5
.LBB67_3:                               ; =>This Inner Loop Header: Depth=1
	v_ashrrev_i32_e32 v1, 31, v0
	s_delay_alu instid0(VALU_DEP_1) | instskip(SKIP_1) | instid1(VALU_DEP_2)
	v_lshlrev_b64 v[3:4], 2, v[0:1]
	v_mul_hi_u32 v1, s6, v0
	v_add_co_u32 v3, vcc_lo, s4, v3
	s_delay_alu instid0(VALU_DEP_3) | instskip(NEXT) | instid1(VALU_DEP_3)
	v_add_co_ci_u32_e32 v4, vcc_lo, s5, v4, vcc_lo
	v_add_nc_u32_e32 v1, v0, v1
	global_load_b32 v3, v[3:4], off
	v_lshrrev_b32_e32 v1, s7, v1
	s_delay_alu instid0(VALU_DEP_1) | instskip(SKIP_2) | instid1(VALU_DEP_2)
	v_cmp_gt_i32_e64 s0, s8, v1
	s_waitcnt vmcnt(0)
	v_cmp_gt_i32_e32 vcc_lo, s10, v3
	s_and_b32 s14, vcc_lo, s0
	s_delay_alu instid0(SALU_CYCLE_1)
	s_and_saveexec_b32 s0, s14
	s_cbranch_execz .LBB67_2
; %bb.4:                                ;   in Loop: Header=BB67_3 Depth=1
	v_mad_u64_u32 v[4:5], null, s11, v3, v[1:2]
	v_mul_lo_u32 v6, s13, v1
	v_mov_b32_e32 v5, v2
	s_delay_alu instid0(VALU_DEP_1) | instskip(NEXT) | instid1(VALU_DEP_3)
	v_lshlrev_b64 v[3:4], 2, v[4:5]
	v_add3_u32 v1, v0, v6, 1
	s_delay_alu instid0(VALU_DEP_2) | instskip(NEXT) | instid1(VALU_DEP_2)
	v_add_co_u32 v3, vcc_lo, s2, v3
	v_and_b32_e32 v1, 0xffff, v1
	s_delay_alu instid0(VALU_DEP_4)
	v_add_co_ci_u32_e32 v4, vcc_lo, s3, v4, vcc_lo
	global_store_b32 v[3:4], v1, off
	s_branch .LBB67_2
.LBB67_5:
	s_set_inst_prefetch_distance 0x2
	s_nop 0
	s_sendmsg sendmsg(MSG_DEALLOC_VGPRS)
	s_endpgm
	.section	.rodata,"a",@progbits
	.p2align	6, 0x0
	.amdhsa_kernel _ZN5aiter22opus_moe_sorting_entryINS_32MoeSortingMultiPhaseKernel_P0_v1INS_19MoeSortingProblemMpIifiLi1ELb1ELb1ELb1EEEEENS4_5KargsEEEvT0_
		.amdhsa_group_segment_fixed_size 0
		.amdhsa_private_segment_fixed_size 0
		.amdhsa_kernarg_size 304
		.amdhsa_user_sgpr_count 15
		.amdhsa_user_sgpr_dispatch_ptr 0
		.amdhsa_user_sgpr_queue_ptr 0
		.amdhsa_user_sgpr_kernarg_segment_ptr 1
		.amdhsa_user_sgpr_dispatch_id 0
		.amdhsa_user_sgpr_private_segment_size 0
		.amdhsa_wavefront_size32 1
		.amdhsa_uses_dynamic_stack 0
		.amdhsa_enable_private_segment 0
		.amdhsa_system_sgpr_workgroup_id_x 1
		.amdhsa_system_sgpr_workgroup_id_y 0
		.amdhsa_system_sgpr_workgroup_id_z 0
		.amdhsa_system_sgpr_workgroup_info 0
		.amdhsa_system_vgpr_workitem_id 0
		.amdhsa_next_free_vgpr 7
		.amdhsa_next_free_sgpr 16
		.amdhsa_reserve_vcc 1
		.amdhsa_float_round_mode_32 0
		.amdhsa_float_round_mode_16_64 0
		.amdhsa_float_denorm_mode_32 3
		.amdhsa_float_denorm_mode_16_64 3
		.amdhsa_dx10_clamp 1
		.amdhsa_ieee_mode 1
		.amdhsa_fp16_overflow 0
		.amdhsa_workgroup_processor_mode 1
		.amdhsa_memory_ordered 1
		.amdhsa_forward_progress 0
		.amdhsa_shared_vgpr_count 0
		.amdhsa_exception_fp_ieee_invalid_op 0
		.amdhsa_exception_fp_denorm_src 0
		.amdhsa_exception_fp_ieee_div_zero 0
		.amdhsa_exception_fp_ieee_overflow 0
		.amdhsa_exception_fp_ieee_underflow 0
		.amdhsa_exception_fp_ieee_inexact 0
		.amdhsa_exception_int_div_zero 0
	.end_amdhsa_kernel
	.section	.text._ZN5aiter22opus_moe_sorting_entryINS_32MoeSortingMultiPhaseKernel_P0_v1INS_19MoeSortingProblemMpIifiLi1ELb1ELb1ELb1EEEEENS4_5KargsEEEvT0_,"axG",@progbits,_ZN5aiter22opus_moe_sorting_entryINS_32MoeSortingMultiPhaseKernel_P0_v1INS_19MoeSortingProblemMpIifiLi1ELb1ELb1ELb1EEEEENS4_5KargsEEEvT0_,comdat
.Lfunc_end67:
	.size	_ZN5aiter22opus_moe_sorting_entryINS_32MoeSortingMultiPhaseKernel_P0_v1INS_19MoeSortingProblemMpIifiLi1ELb1ELb1ELb1EEEEENS4_5KargsEEEvT0_, .Lfunc_end67-_ZN5aiter22opus_moe_sorting_entryINS_32MoeSortingMultiPhaseKernel_P0_v1INS_19MoeSortingProblemMpIifiLi1ELb1ELb1ELb1EEEEENS4_5KargsEEEvT0_
                                        ; -- End function
	.section	.AMDGPU.csdata,"",@progbits
; Kernel info:
; codeLenInByte = 372
; NumSgprs: 18
; NumVgprs: 7
; ScratchSize: 0
; MemoryBound: 0
; FloatMode: 240
; IeeeMode: 1
; LDSByteSize: 0 bytes/workgroup (compile time only)
; SGPRBlocks: 2
; VGPRBlocks: 0
; NumSGPRsForWavesPerEU: 18
; NumVGPRsForWavesPerEU: 7
; Occupancy: 16
; WaveLimiterHint : 1
; COMPUTE_PGM_RSRC2:SCRATCH_EN: 0
; COMPUTE_PGM_RSRC2:USER_SGPR: 15
; COMPUTE_PGM_RSRC2:TRAP_HANDLER: 0
; COMPUTE_PGM_RSRC2:TGID_X_EN: 1
; COMPUTE_PGM_RSRC2:TGID_Y_EN: 0
; COMPUTE_PGM_RSRC2:TGID_Z_EN: 0
; COMPUTE_PGM_RSRC2:TIDIG_COMP_CNT: 0
	.section	.text._ZN5aiter22opus_moe_sorting_entryINS_29MoeSortingMultiPhaseKernel_P1INS_19MoeSortingProblemMpIifiLi1ELb1ELb1ELb1EEEEENS4_5KargsEEEvT0_,"axG",@progbits,_ZN5aiter22opus_moe_sorting_entryINS_29MoeSortingMultiPhaseKernel_P1INS_19MoeSortingProblemMpIifiLi1ELb1ELb1ELb1EEEEENS4_5KargsEEEvT0_,comdat
	.protected	_ZN5aiter22opus_moe_sorting_entryINS_29MoeSortingMultiPhaseKernel_P1INS_19MoeSortingProblemMpIifiLi1ELb1ELb1ELb1EEEEENS4_5KargsEEEvT0_ ; -- Begin function _ZN5aiter22opus_moe_sorting_entryINS_29MoeSortingMultiPhaseKernel_P1INS_19MoeSortingProblemMpIifiLi1ELb1ELb1ELb1EEEEENS4_5KargsEEEvT0_
	.globl	_ZN5aiter22opus_moe_sorting_entryINS_29MoeSortingMultiPhaseKernel_P1INS_19MoeSortingProblemMpIifiLi1ELb1ELb1ELb1EEEEENS4_5KargsEEEvT0_
	.p2align	8
	.type	_ZN5aiter22opus_moe_sorting_entryINS_29MoeSortingMultiPhaseKernel_P1INS_19MoeSortingProblemMpIifiLi1ELb1ELb1ELb1EEEEENS4_5KargsEEEvT0_,@function
_ZN5aiter22opus_moe_sorting_entryINS_29MoeSortingMultiPhaseKernel_P1INS_19MoeSortingProblemMpIifiLi1ELb1ELb1ELb1EEEEENS4_5KargsEEEvT0_: ; @_ZN5aiter22opus_moe_sorting_entryINS_29MoeSortingMultiPhaseKernel_P1INS_19MoeSortingProblemMpIifiLi1ELb1ELb1ELb1EEEEENS4_5KargsEEEvT0_
; %bb.0:
	s_load_b256 s[0:7], s[0:1], 0x0
	s_mov_b32 s10, s15
	s_ashr_i32 s11, s15, 31
	s_delay_alu instid0(SALU_CYCLE_1)
	s_lshl_b64 s[8:9], s[10:11], 2
	s_waitcnt lgkmcnt(0)
	s_add_u32 s0, s0, s8
	s_addc_u32 s1, s1, s9
	s_load_b32 s0, s[0:1], 0x0
	s_waitcnt lgkmcnt(0)
	s_cmp_eq_u32 s0, 0
	s_cbranch_scc1 .LBB68_11
; %bb.1:
	s_load_b32 s0, s[2:3], 0x0
	s_waitcnt lgkmcnt(0)
	s_cmp_lt_i32 s0, 1
	s_cbranch_scc1 .LBB68_6
; %bb.2:
	s_add_i32 s0, s0, 31
	v_mbcnt_lo_u32_b32 v1, -1, 0
	s_ashr_i32 s1, s0, 31
	v_mov_b32_e32 v3, 0
	s_lshr_b32 s1, s1, 27
	s_delay_alu instid0(VALU_DEP_2) | instskip(SKIP_1) | instid1(SALU_CYCLE_1)
	v_lshlrev_b32_e32 v1, 2, v1
	s_add_i32 s1, s0, s1
	s_and_not1_b32 s1, s1, 31
	s_delay_alu instid0(SALU_CYCLE_1) | instskip(NEXT) | instid1(VALU_DEP_1)
	s_mul_i32 s2, s1, s10
	v_xor_b32_e32 v4, 4, v1
	s_ashr_i32 s3, s2, 31
	v_xor_b32_e32 v5, 8, v1
	s_lshl_b64 s[2:3], s[2:3], 2
	v_xor_b32_e32 v6, 16, v1
	s_add_u32 s2, s4, s2
	s_addc_u32 s3, s5, s3
	s_add_i32 s0, s1, 0xff
	v_xor_b32_e32 v7, 32, v1
	s_ashr_i32 s4, s0, 31
	v_xor_b32_e32 v8, 64, v1
	s_lshr_b32 s4, s4, 24
	v_mov_b32_e32 v1, v0
	s_add_i32 s0, s0, s4
	s_delay_alu instid0(SALU_CYCLE_1) | instskip(NEXT) | instid1(SALU_CYCLE_1)
	s_ashr_i32 s0, s0, 8
	s_max_i32 s4, s0, 1
	s_set_inst_prefetch_distance 0x1
	s_branch .LBB68_4
	.p2align	6
.LBB68_3:                               ;   in Loop: Header=BB68_4 Depth=1
	s_or_b32 exec_lo, exec_lo, s0
	s_waitcnt vmcnt(0)
	v_cmp_ne_u32_e32 vcc_lo, 0, v2
	v_add_nc_u32_e32 v1, 0x100, v1
	s_add_i32 s4, s4, -1
	s_delay_alu instid0(SALU_CYCLE_1)
	s_cmp_eq_u32 s4, 0
	v_cndmask_b32_e64 v2, 0, 1, vcc_lo
	ds_bpermute_b32 v2, v4, v2
	s_waitcnt lgkmcnt(0)
	v_add_co_ci_u32_e64 v9, s0, 0, v2, vcc_lo
	ds_bpermute_b32 v9, v5, v9
	s_waitcnt lgkmcnt(0)
	v_add_co_ci_u32_e32 v2, vcc_lo, v9, v2, vcc_lo
	ds_bpermute_b32 v9, v6, v2
	s_waitcnt lgkmcnt(0)
	v_add_nc_u32_e32 v2, v2, v9
	ds_bpermute_b32 v9, v7, v2
	s_waitcnt lgkmcnt(0)
	v_add_nc_u32_e32 v2, v2, v9
	ds_bpermute_b32 v9, v8, v2
	s_waitcnt lgkmcnt(0)
	v_add3_u32 v3, v9, v3, v2
	s_cbranch_scc1 .LBB68_7
.LBB68_4:                               ; =>This Inner Loop Header: Depth=1
	v_mov_b32_e32 v2, 0
	s_mov_b32 s0, exec_lo
	v_cmpx_gt_i32_e64 s1, v1
	s_cbranch_execz .LBB68_3
; %bb.5:                                ;   in Loop: Header=BB68_4 Depth=1
	v_ashrrev_i32_e32 v2, 31, v1
	s_delay_alu instid0(VALU_DEP_1) | instskip(NEXT) | instid1(VALU_DEP_1)
	v_lshlrev_b64 v[9:10], 2, v[1:2]
	v_add_co_u32 v9, vcc_lo, s2, v9
	s_delay_alu instid0(VALU_DEP_2)
	v_add_co_ci_u32_e32 v10, vcc_lo, s3, v10, vcc_lo
	global_load_b32 v2, v[9:10], off
	s_branch .LBB68_3
.LBB68_6:
	v_mov_b32_e32 v3, 0
.LBB68_7:
	s_set_inst_prefetch_distance 0x2
	v_and_b32_e32 v1, 31, v0
	s_mov_b32 s0, exec_lo
	s_delay_alu instid0(VALU_DEP_1)
	v_cmpx_eq_u32_e32 0, v1
	s_cbranch_execz .LBB68_9
; %bb.8:
	v_lshrrev_b32_e32 v1, 3, v0
	ds_store_b32 v1, v3
.LBB68_9:
	s_or_b32 exec_lo, exec_lo, s0
	s_waitcnt lgkmcnt(0)
	s_barrier
	buffer_gl0_inv
	s_mov_b32 s0, exec_lo
	v_cmpx_eq_u32_e32 0, v0
	s_cbranch_execz .LBB68_11
; %bb.10:
	v_mov_b32_e32 v8, 0
	s_add_u32 s0, s6, s8
	s_addc_u32 s1, s7, s9
	ds_load_b128 v[0:3], v8
	ds_load_b128 v[4:7], v8 offset:16
	s_waitcnt lgkmcnt(1)
	v_add_nc_u32_e32 v0, v1, v0
	s_delay_alu instid0(VALU_DEP_1) | instskip(NEXT) | instid1(VALU_DEP_1)
	v_add_nc_u32_e32 v0, v0, v2
	v_add_nc_u32_e32 v0, v0, v3
	s_waitcnt lgkmcnt(0)
	s_delay_alu instid0(VALU_DEP_1) | instskip(NEXT) | instid1(VALU_DEP_1)
	v_add_nc_u32_e32 v0, v0, v4
	v_add_nc_u32_e32 v0, v0, v5
	s_delay_alu instid0(VALU_DEP_1) | instskip(NEXT) | instid1(VALU_DEP_1)
	v_add_nc_u32_e32 v0, v0, v6
	v_add_nc_u32_e32 v0, v0, v7
	global_store_b32 v8, v0, s[0:1]
.LBB68_11:
	s_nop 0
	s_sendmsg sendmsg(MSG_DEALLOC_VGPRS)
	s_endpgm
	.section	.rodata,"a",@progbits
	.p2align	6, 0x0
	.amdhsa_kernel _ZN5aiter22opus_moe_sorting_entryINS_29MoeSortingMultiPhaseKernel_P1INS_19MoeSortingProblemMpIifiLi1ELb1ELb1ELb1EEEEENS4_5KargsEEEvT0_
		.amdhsa_group_segment_fixed_size 32
		.amdhsa_private_segment_fixed_size 0
		.amdhsa_kernarg_size 40
		.amdhsa_user_sgpr_count 15
		.amdhsa_user_sgpr_dispatch_ptr 0
		.amdhsa_user_sgpr_queue_ptr 0
		.amdhsa_user_sgpr_kernarg_segment_ptr 1
		.amdhsa_user_sgpr_dispatch_id 0
		.amdhsa_user_sgpr_private_segment_size 0
		.amdhsa_wavefront_size32 1
		.amdhsa_uses_dynamic_stack 0
		.amdhsa_enable_private_segment 0
		.amdhsa_system_sgpr_workgroup_id_x 1
		.amdhsa_system_sgpr_workgroup_id_y 0
		.amdhsa_system_sgpr_workgroup_id_z 0
		.amdhsa_system_sgpr_workgroup_info 0
		.amdhsa_system_vgpr_workitem_id 0
		.amdhsa_next_free_vgpr 11
		.amdhsa_next_free_sgpr 16
		.amdhsa_reserve_vcc 1
		.amdhsa_float_round_mode_32 0
		.amdhsa_float_round_mode_16_64 0
		.amdhsa_float_denorm_mode_32 3
		.amdhsa_float_denorm_mode_16_64 3
		.amdhsa_dx10_clamp 1
		.amdhsa_ieee_mode 1
		.amdhsa_fp16_overflow 0
		.amdhsa_workgroup_processor_mode 1
		.amdhsa_memory_ordered 1
		.amdhsa_forward_progress 0
		.amdhsa_shared_vgpr_count 0
		.amdhsa_exception_fp_ieee_invalid_op 0
		.amdhsa_exception_fp_denorm_src 0
		.amdhsa_exception_fp_ieee_div_zero 0
		.amdhsa_exception_fp_ieee_overflow 0
		.amdhsa_exception_fp_ieee_underflow 0
		.amdhsa_exception_fp_ieee_inexact 0
		.amdhsa_exception_int_div_zero 0
	.end_amdhsa_kernel
	.section	.text._ZN5aiter22opus_moe_sorting_entryINS_29MoeSortingMultiPhaseKernel_P1INS_19MoeSortingProblemMpIifiLi1ELb1ELb1ELb1EEEEENS4_5KargsEEEvT0_,"axG",@progbits,_ZN5aiter22opus_moe_sorting_entryINS_29MoeSortingMultiPhaseKernel_P1INS_19MoeSortingProblemMpIifiLi1ELb1ELb1ELb1EEEEENS4_5KargsEEEvT0_,comdat
.Lfunc_end68:
	.size	_ZN5aiter22opus_moe_sorting_entryINS_29MoeSortingMultiPhaseKernel_P1INS_19MoeSortingProblemMpIifiLi1ELb1ELb1ELb1EEEEENS4_5KargsEEEvT0_, .Lfunc_end68-_ZN5aiter22opus_moe_sorting_entryINS_29MoeSortingMultiPhaseKernel_P1INS_19MoeSortingProblemMpIifiLi1ELb1ELb1ELb1EEEEENS4_5KargsEEEvT0_
                                        ; -- End function
	.section	.AMDGPU.csdata,"",@progbits
; Kernel info:
; codeLenInByte = 568
; NumSgprs: 18
; NumVgprs: 11
; ScratchSize: 0
; MemoryBound: 0
; FloatMode: 240
; IeeeMode: 1
; LDSByteSize: 32 bytes/workgroup (compile time only)
; SGPRBlocks: 2
; VGPRBlocks: 1
; NumSGPRsForWavesPerEU: 18
; NumVGPRsForWavesPerEU: 11
; Occupancy: 16
; WaveLimiterHint : 1
; COMPUTE_PGM_RSRC2:SCRATCH_EN: 0
; COMPUTE_PGM_RSRC2:USER_SGPR: 15
; COMPUTE_PGM_RSRC2:TRAP_HANDLER: 0
; COMPUTE_PGM_RSRC2:TGID_X_EN: 1
; COMPUTE_PGM_RSRC2:TGID_Y_EN: 0
; COMPUTE_PGM_RSRC2:TGID_Z_EN: 0
; COMPUTE_PGM_RSRC2:TIDIG_COMP_CNT: 0
	.section	.text._ZN5aiter22opus_moe_sorting_entryINS_32MoeSortingMultiPhaseKernel_P0_v1INS_19MoeSortingProblemMpIifiLi1ELb1ELb0ELb1EEEEENS4_5KargsEEEvT0_,"axG",@progbits,_ZN5aiter22opus_moe_sorting_entryINS_32MoeSortingMultiPhaseKernel_P0_v1INS_19MoeSortingProblemMpIifiLi1ELb1ELb0ELb1EEEEENS4_5KargsEEEvT0_,comdat
	.protected	_ZN5aiter22opus_moe_sorting_entryINS_32MoeSortingMultiPhaseKernel_P0_v1INS_19MoeSortingProblemMpIifiLi1ELb1ELb0ELb1EEEEENS4_5KargsEEEvT0_ ; -- Begin function _ZN5aiter22opus_moe_sorting_entryINS_32MoeSortingMultiPhaseKernel_P0_v1INS_19MoeSortingProblemMpIifiLi1ELb1ELb0ELb1EEEEENS4_5KargsEEEvT0_
	.globl	_ZN5aiter22opus_moe_sorting_entryINS_32MoeSortingMultiPhaseKernel_P0_v1INS_19MoeSortingProblemMpIifiLi1ELb1ELb0ELb1EEEEENS4_5KargsEEEvT0_
	.p2align	8
	.type	_ZN5aiter22opus_moe_sorting_entryINS_32MoeSortingMultiPhaseKernel_P0_v1INS_19MoeSortingProblemMpIifiLi1ELb1ELb0ELb1EEEEENS4_5KargsEEEvT0_,@function
_ZN5aiter22opus_moe_sorting_entryINS_32MoeSortingMultiPhaseKernel_P0_v1INS_19MoeSortingProblemMpIifiLi1ELb1ELb0ELb1EEEEENS4_5KargsEEEvT0_: ; @_ZN5aiter22opus_moe_sorting_entryINS_32MoeSortingMultiPhaseKernel_P0_v1INS_19MoeSortingProblemMpIifiLi1ELb1ELb0ELb1EEEEENS4_5KargsEEEvT0_
; %bb.0:
	s_load_b128 s[4:7], s[0:1], 0x18
	v_lshl_add_u32 v0, s15, 8, v0
	s_mov_b32 s2, exec_lo
	s_waitcnt lgkmcnt(0)
	s_mul_i32 s4, s7, s4
	s_delay_alu instid0(VALU_DEP_1) | instid1(SALU_CYCLE_1)
	v_cmpx_gt_i32_e64 s4, v0
	s_cbranch_execz .LBB69_5
; %bb.1:
	s_clause 0x3
	s_load_b32 s11, s[0:1], 0x30
	s_load_b64 s[2:3], s[0:1], 0x0
	s_load_b64 s[8:9], s[0:1], 0x10
	;; [unrolled: 1-line block ×3, first 2 shown]
	v_mov_b32_e32 v2, 0
	s_mov_b32 s10, 0
	s_sub_i32 s7, 0, s7
	s_waitcnt lgkmcnt(0)
	s_lshl_b32 s11, s11, 8
	s_set_inst_prefetch_distance 0x1
	s_branch .LBB69_3
	.p2align	6
.LBB69_2:                               ;   in Loop: Header=BB69_3 Depth=1
	s_or_b32 exec_lo, exec_lo, s12
	v_add_nc_u32_e32 v0, s11, v0
	s_delay_alu instid0(VALU_DEP_1) | instskip(SKIP_1) | instid1(SALU_CYCLE_1)
	v_cmp_le_i32_e32 vcc_lo, s4, v0
	s_or_b32 s10, vcc_lo, s10
	s_and_not1_b32 exec_lo, exec_lo, s10
	s_cbranch_execz .LBB69_5
.LBB69_3:                               ; =>This Inner Loop Header: Depth=1
	v_ashrrev_i32_e32 v1, 31, v0
	s_mov_b32 s12, exec_lo
	s_delay_alu instid0(VALU_DEP_1) | instskip(NEXT) | instid1(VALU_DEP_1)
	v_lshlrev_b64 v[3:4], 2, v[0:1]
	v_add_co_u32 v3, vcc_lo, s2, v3
	s_delay_alu instid0(VALU_DEP_2)
	v_add_co_ci_u32_e32 v4, vcc_lo, s3, v4, vcc_lo
	global_load_b32 v1, v[3:4], off
	s_waitcnt vmcnt(0)
	v_cmpx_gt_i32_e64 s5, v1
	s_cbranch_execz .LBB69_2
; %bb.4:                                ;   in Loop: Header=BB69_3 Depth=1
	v_mul_hi_u32 v3, s0, v0
	s_delay_alu instid0(VALU_DEP_1) | instskip(NEXT) | instid1(VALU_DEP_1)
	v_add_nc_u32_e32 v3, v0, v3
	v_lshrrev_b32_e32 v3, s1, v3
	s_delay_alu instid0(VALU_DEP_1) | instskip(SKIP_2) | instid1(VALU_DEP_1)
	v_mad_u64_u32 v[4:5], null, v1, s6, v[3:4]
	v_mul_lo_u32 v6, s7, v3
	v_mov_b32_e32 v5, v2
	v_lshlrev_b64 v[3:4], 2, v[4:5]
	s_delay_alu instid0(VALU_DEP_3) | instskip(NEXT) | instid1(VALU_DEP_2)
	v_add3_u32 v1, v0, v6, 1
	v_add_co_u32 v3, vcc_lo, s8, v3
	s_delay_alu instid0(VALU_DEP_2) | instskip(NEXT) | instid1(VALU_DEP_4)
	v_and_b32_e32 v1, 0xffff, v1
	v_add_co_ci_u32_e32 v4, vcc_lo, s9, v4, vcc_lo
	global_store_b32 v[3:4], v1, off
	s_branch .LBB69_2
.LBB69_5:
	s_set_inst_prefetch_distance 0x2
	s_nop 0
	s_sendmsg sendmsg(MSG_DEALLOC_VGPRS)
	s_endpgm
	.section	.rodata,"a",@progbits
	.p2align	6, 0x0
	.amdhsa_kernel _ZN5aiter22opus_moe_sorting_entryINS_32MoeSortingMultiPhaseKernel_P0_v1INS_19MoeSortingProblemMpIifiLi1ELb1ELb0ELb1EEEEENS4_5KargsEEEvT0_
		.amdhsa_group_segment_fixed_size 0
		.amdhsa_private_segment_fixed_size 0
		.amdhsa_kernarg_size 304
		.amdhsa_user_sgpr_count 15
		.amdhsa_user_sgpr_dispatch_ptr 0
		.amdhsa_user_sgpr_queue_ptr 0
		.amdhsa_user_sgpr_kernarg_segment_ptr 1
		.amdhsa_user_sgpr_dispatch_id 0
		.amdhsa_user_sgpr_private_segment_size 0
		.amdhsa_wavefront_size32 1
		.amdhsa_uses_dynamic_stack 0
		.amdhsa_enable_private_segment 0
		.amdhsa_system_sgpr_workgroup_id_x 1
		.amdhsa_system_sgpr_workgroup_id_y 0
		.amdhsa_system_sgpr_workgroup_id_z 0
		.amdhsa_system_sgpr_workgroup_info 0
		.amdhsa_system_vgpr_workitem_id 0
		.amdhsa_next_free_vgpr 7
		.amdhsa_next_free_sgpr 16
		.amdhsa_reserve_vcc 1
		.amdhsa_float_round_mode_32 0
		.amdhsa_float_round_mode_16_64 0
		.amdhsa_float_denorm_mode_32 3
		.amdhsa_float_denorm_mode_16_64 3
		.amdhsa_dx10_clamp 1
		.amdhsa_ieee_mode 1
		.amdhsa_fp16_overflow 0
		.amdhsa_workgroup_processor_mode 1
		.amdhsa_memory_ordered 1
		.amdhsa_forward_progress 0
		.amdhsa_shared_vgpr_count 0
		.amdhsa_exception_fp_ieee_invalid_op 0
		.amdhsa_exception_fp_denorm_src 0
		.amdhsa_exception_fp_ieee_div_zero 0
		.amdhsa_exception_fp_ieee_overflow 0
		.amdhsa_exception_fp_ieee_underflow 0
		.amdhsa_exception_fp_ieee_inexact 0
		.amdhsa_exception_int_div_zero 0
	.end_amdhsa_kernel
	.section	.text._ZN5aiter22opus_moe_sorting_entryINS_32MoeSortingMultiPhaseKernel_P0_v1INS_19MoeSortingProblemMpIifiLi1ELb1ELb0ELb1EEEEENS4_5KargsEEEvT0_,"axG",@progbits,_ZN5aiter22opus_moe_sorting_entryINS_32MoeSortingMultiPhaseKernel_P0_v1INS_19MoeSortingProblemMpIifiLi1ELb1ELb0ELb1EEEEENS4_5KargsEEEvT0_,comdat
.Lfunc_end69:
	.size	_ZN5aiter22opus_moe_sorting_entryINS_32MoeSortingMultiPhaseKernel_P0_v1INS_19MoeSortingProblemMpIifiLi1ELb1ELb0ELb1EEEEENS4_5KargsEEEvT0_, .Lfunc_end69-_ZN5aiter22opus_moe_sorting_entryINS_32MoeSortingMultiPhaseKernel_P0_v1INS_19MoeSortingProblemMpIifiLi1ELb1ELb0ELb1EEEEENS4_5KargsEEEvT0_
                                        ; -- End function
	.section	.AMDGPU.csdata,"",@progbits
; Kernel info:
; codeLenInByte = 312
; NumSgprs: 18
; NumVgprs: 7
; ScratchSize: 0
; MemoryBound: 0
; FloatMode: 240
; IeeeMode: 1
; LDSByteSize: 0 bytes/workgroup (compile time only)
; SGPRBlocks: 2
; VGPRBlocks: 0
; NumSGPRsForWavesPerEU: 18
; NumVGPRsForWavesPerEU: 7
; Occupancy: 16
; WaveLimiterHint : 1
; COMPUTE_PGM_RSRC2:SCRATCH_EN: 0
; COMPUTE_PGM_RSRC2:USER_SGPR: 15
; COMPUTE_PGM_RSRC2:TRAP_HANDLER: 0
; COMPUTE_PGM_RSRC2:TGID_X_EN: 1
; COMPUTE_PGM_RSRC2:TGID_Y_EN: 0
; COMPUTE_PGM_RSRC2:TGID_Z_EN: 0
; COMPUTE_PGM_RSRC2:TIDIG_COMP_CNT: 0
	.section	.text._ZN5aiter22opus_moe_sorting_entryINS_29MoeSortingMultiPhaseKernel_P1INS_19MoeSortingProblemMpIifiLi1ELb1ELb0ELb1EEEEENS4_5KargsEEEvT0_,"axG",@progbits,_ZN5aiter22opus_moe_sorting_entryINS_29MoeSortingMultiPhaseKernel_P1INS_19MoeSortingProblemMpIifiLi1ELb1ELb0ELb1EEEEENS4_5KargsEEEvT0_,comdat
	.protected	_ZN5aiter22opus_moe_sorting_entryINS_29MoeSortingMultiPhaseKernel_P1INS_19MoeSortingProblemMpIifiLi1ELb1ELb0ELb1EEEEENS4_5KargsEEEvT0_ ; -- Begin function _ZN5aiter22opus_moe_sorting_entryINS_29MoeSortingMultiPhaseKernel_P1INS_19MoeSortingProblemMpIifiLi1ELb1ELb0ELb1EEEEENS4_5KargsEEEvT0_
	.globl	_ZN5aiter22opus_moe_sorting_entryINS_29MoeSortingMultiPhaseKernel_P1INS_19MoeSortingProblemMpIifiLi1ELb1ELb0ELb1EEEEENS4_5KargsEEEvT0_
	.p2align	8
	.type	_ZN5aiter22opus_moe_sorting_entryINS_29MoeSortingMultiPhaseKernel_P1INS_19MoeSortingProblemMpIifiLi1ELb1ELb0ELb1EEEEENS4_5KargsEEEvT0_,@function
_ZN5aiter22opus_moe_sorting_entryINS_29MoeSortingMultiPhaseKernel_P1INS_19MoeSortingProblemMpIifiLi1ELb1ELb0ELb1EEEEENS4_5KargsEEEvT0_: ; @_ZN5aiter22opus_moe_sorting_entryINS_29MoeSortingMultiPhaseKernel_P1INS_19MoeSortingProblemMpIifiLi1ELb1ELb0ELb1EEEEENS4_5KargsEEEvT0_
; %bb.0:
	s_load_b64 s[2:3], s[0:1], 0x0
	s_mov_b32 s6, s15
	s_ashr_i32 s7, s15, 31
	s_delay_alu instid0(SALU_CYCLE_1)
	s_lshl_b64 s[4:5], s[6:7], 2
	s_waitcnt lgkmcnt(0)
	s_add_u32 s2, s2, s4
	s_addc_u32 s3, s3, s5
	s_load_b32 s2, s[2:3], 0x0
	s_waitcnt lgkmcnt(0)
	s_cmp_eq_u32 s2, 0
	s_cbranch_scc1 .LBB70_11
; %bb.1:
	s_clause 0x1
	s_load_b32 s7, s[0:1], 0x20
	s_load_b128 s[0:3], s[0:1], 0x10
	s_waitcnt lgkmcnt(0)
	s_cmp_lt_i32 s7, 1
	s_cbranch_scc1 .LBB70_6
; %bb.2:
	s_mul_i32 s8, s7, s6
	v_mbcnt_lo_u32_b32 v1, -1, 0
	s_ashr_i32 s9, s8, 31
	v_mov_b32_e32 v3, 0
	s_lshl_b64 s[8:9], s[8:9], 2
	s_delay_alu instid0(VALU_DEP_2) | instskip(SKIP_3) | instid1(SALU_CYCLE_1)
	v_lshlrev_b32_e32 v1, 2, v1
	s_add_u32 s6, s0, s8
	s_addc_u32 s1, s1, s9
	s_add_i32 s0, s7, 0xff
	s_ashr_i32 s8, s0, 31
	v_xor_b32_e32 v4, 4, v1
	s_lshr_b32 s8, s8, 24
	v_xor_b32_e32 v5, 8, v1
	s_add_i32 s0, s0, s8
	v_xor_b32_e32 v6, 16, v1
	v_xor_b32_e32 v7, 32, v1
	;; [unrolled: 1-line block ×3, first 2 shown]
	v_mov_b32_e32 v1, v0
	s_ashr_i32 s0, s0, 8
	s_delay_alu instid0(SALU_CYCLE_1)
	s_max_i32 s8, s0, 1
	s_set_inst_prefetch_distance 0x1
	s_branch .LBB70_4
	.p2align	6
.LBB70_3:                               ;   in Loop: Header=BB70_4 Depth=1
	s_or_b32 exec_lo, exec_lo, s0
	s_waitcnt vmcnt(0)
	v_cmp_ne_u32_e32 vcc_lo, 0, v2
	v_add_nc_u32_e32 v1, 0x100, v1
	s_add_i32 s8, s8, -1
	s_delay_alu instid0(SALU_CYCLE_1)
	s_cmp_eq_u32 s8, 0
	v_cndmask_b32_e64 v2, 0, 1, vcc_lo
	ds_bpermute_b32 v2, v4, v2
	s_waitcnt lgkmcnt(0)
	v_add_co_ci_u32_e64 v9, s0, 0, v2, vcc_lo
	ds_bpermute_b32 v9, v5, v9
	s_waitcnt lgkmcnt(0)
	v_add_co_ci_u32_e32 v2, vcc_lo, v9, v2, vcc_lo
	ds_bpermute_b32 v9, v6, v2
	s_waitcnt lgkmcnt(0)
	v_add_nc_u32_e32 v2, v2, v9
	ds_bpermute_b32 v9, v7, v2
	s_waitcnt lgkmcnt(0)
	v_add_nc_u32_e32 v2, v2, v9
	ds_bpermute_b32 v9, v8, v2
	s_waitcnt lgkmcnt(0)
	v_add3_u32 v3, v9, v3, v2
	s_cbranch_scc1 .LBB70_7
.LBB70_4:                               ; =>This Inner Loop Header: Depth=1
	v_mov_b32_e32 v2, 0
	s_mov_b32 s0, exec_lo
	v_cmpx_gt_i32_e64 s7, v1
	s_cbranch_execz .LBB70_3
; %bb.5:                                ;   in Loop: Header=BB70_4 Depth=1
	v_ashrrev_i32_e32 v2, 31, v1
	s_delay_alu instid0(VALU_DEP_1) | instskip(NEXT) | instid1(VALU_DEP_1)
	v_lshlrev_b64 v[9:10], 2, v[1:2]
	v_add_co_u32 v9, vcc_lo, s6, v9
	s_delay_alu instid0(VALU_DEP_2)
	v_add_co_ci_u32_e32 v10, vcc_lo, s1, v10, vcc_lo
	global_load_b32 v2, v[9:10], off
	s_branch .LBB70_3
.LBB70_6:
	v_mov_b32_e32 v3, 0
.LBB70_7:
	s_set_inst_prefetch_distance 0x2
	v_and_b32_e32 v1, 31, v0
	s_mov_b32 s0, exec_lo
	s_delay_alu instid0(VALU_DEP_1)
	v_cmpx_eq_u32_e32 0, v1
	s_cbranch_execz .LBB70_9
; %bb.8:
	v_lshrrev_b32_e32 v1, 3, v0
	ds_store_b32 v1, v3
.LBB70_9:
	s_or_b32 exec_lo, exec_lo, s0
	s_waitcnt lgkmcnt(0)
	s_barrier
	buffer_gl0_inv
	s_mov_b32 s0, exec_lo
	v_cmpx_eq_u32_e32 0, v0
	s_cbranch_execz .LBB70_11
; %bb.10:
	v_mov_b32_e32 v8, 0
	s_add_u32 s0, s2, s4
	s_addc_u32 s1, s3, s5
	ds_load_b128 v[0:3], v8
	ds_load_b128 v[4:7], v8 offset:16
	s_waitcnt lgkmcnt(1)
	v_add_nc_u32_e32 v0, v1, v0
	s_delay_alu instid0(VALU_DEP_1) | instskip(NEXT) | instid1(VALU_DEP_1)
	v_add_nc_u32_e32 v0, v0, v2
	v_add_nc_u32_e32 v0, v0, v3
	s_waitcnt lgkmcnt(0)
	s_delay_alu instid0(VALU_DEP_1) | instskip(NEXT) | instid1(VALU_DEP_1)
	v_add_nc_u32_e32 v0, v0, v4
	v_add_nc_u32_e32 v0, v0, v5
	s_delay_alu instid0(VALU_DEP_1) | instskip(NEXT) | instid1(VALU_DEP_1)
	v_add_nc_u32_e32 v0, v0, v6
	v_add_nc_u32_e32 v0, v0, v7
	global_store_b32 v8, v0, s[0:1]
.LBB70_11:
	s_nop 0
	s_sendmsg sendmsg(MSG_DEALLOC_VGPRS)
	s_endpgm
	.section	.rodata,"a",@progbits
	.p2align	6, 0x0
	.amdhsa_kernel _ZN5aiter22opus_moe_sorting_entryINS_29MoeSortingMultiPhaseKernel_P1INS_19MoeSortingProblemMpIifiLi1ELb1ELb0ELb1EEEEENS4_5KargsEEEvT0_
		.amdhsa_group_segment_fixed_size 32
		.amdhsa_private_segment_fixed_size 0
		.amdhsa_kernarg_size 40
		.amdhsa_user_sgpr_count 15
		.amdhsa_user_sgpr_dispatch_ptr 0
		.amdhsa_user_sgpr_queue_ptr 0
		.amdhsa_user_sgpr_kernarg_segment_ptr 1
		.amdhsa_user_sgpr_dispatch_id 0
		.amdhsa_user_sgpr_private_segment_size 0
		.amdhsa_wavefront_size32 1
		.amdhsa_uses_dynamic_stack 0
		.amdhsa_enable_private_segment 0
		.amdhsa_system_sgpr_workgroup_id_x 1
		.amdhsa_system_sgpr_workgroup_id_y 0
		.amdhsa_system_sgpr_workgroup_id_z 0
		.amdhsa_system_sgpr_workgroup_info 0
		.amdhsa_system_vgpr_workitem_id 0
		.amdhsa_next_free_vgpr 11
		.amdhsa_next_free_sgpr 16
		.amdhsa_reserve_vcc 1
		.amdhsa_float_round_mode_32 0
		.amdhsa_float_round_mode_16_64 0
		.amdhsa_float_denorm_mode_32 3
		.amdhsa_float_denorm_mode_16_64 3
		.amdhsa_dx10_clamp 1
		.amdhsa_ieee_mode 1
		.amdhsa_fp16_overflow 0
		.amdhsa_workgroup_processor_mode 1
		.amdhsa_memory_ordered 1
		.amdhsa_forward_progress 0
		.amdhsa_shared_vgpr_count 0
		.amdhsa_exception_fp_ieee_invalid_op 0
		.amdhsa_exception_fp_denorm_src 0
		.amdhsa_exception_fp_ieee_div_zero 0
		.amdhsa_exception_fp_ieee_overflow 0
		.amdhsa_exception_fp_ieee_underflow 0
		.amdhsa_exception_fp_ieee_inexact 0
		.amdhsa_exception_int_div_zero 0
	.end_amdhsa_kernel
	.section	.text._ZN5aiter22opus_moe_sorting_entryINS_29MoeSortingMultiPhaseKernel_P1INS_19MoeSortingProblemMpIifiLi1ELb1ELb0ELb1EEEEENS4_5KargsEEEvT0_,"axG",@progbits,_ZN5aiter22opus_moe_sorting_entryINS_29MoeSortingMultiPhaseKernel_P1INS_19MoeSortingProblemMpIifiLi1ELb1ELb0ELb1EEEEENS4_5KargsEEEvT0_,comdat
.Lfunc_end70:
	.size	_ZN5aiter22opus_moe_sorting_entryINS_29MoeSortingMultiPhaseKernel_P1INS_19MoeSortingProblemMpIifiLi1ELb1ELb0ELb1EEEEENS4_5KargsEEEvT0_, .Lfunc_end70-_ZN5aiter22opus_moe_sorting_entryINS_29MoeSortingMultiPhaseKernel_P1INS_19MoeSortingProblemMpIifiLi1ELb1ELb0ELb1EEEEENS4_5KargsEEEvT0_
                                        ; -- End function
	.section	.AMDGPU.csdata,"",@progbits
; Kernel info:
; codeLenInByte = 556
; NumSgprs: 18
; NumVgprs: 11
; ScratchSize: 0
; MemoryBound: 0
; FloatMode: 240
; IeeeMode: 1
; LDSByteSize: 32 bytes/workgroup (compile time only)
; SGPRBlocks: 2
; VGPRBlocks: 1
; NumSGPRsForWavesPerEU: 18
; NumVGPRsForWavesPerEU: 11
; Occupancy: 16
; WaveLimiterHint : 0
; COMPUTE_PGM_RSRC2:SCRATCH_EN: 0
; COMPUTE_PGM_RSRC2:USER_SGPR: 15
; COMPUTE_PGM_RSRC2:TRAP_HANDLER: 0
; COMPUTE_PGM_RSRC2:TGID_X_EN: 1
; COMPUTE_PGM_RSRC2:TGID_Y_EN: 0
; COMPUTE_PGM_RSRC2:TGID_Z_EN: 0
; COMPUTE_PGM_RSRC2:TIDIG_COMP_CNT: 0
	.section	.text._ZN5aiter22opus_moe_sorting_entryINS_32MoeSortingMultiPhaseKernel_P0_v1INS_19MoeSortingProblemMpIifiLi1ELb0ELb1ELb1EEEEENS4_5KargsEEEvT0_,"axG",@progbits,_ZN5aiter22opus_moe_sorting_entryINS_32MoeSortingMultiPhaseKernel_P0_v1INS_19MoeSortingProblemMpIifiLi1ELb0ELb1ELb1EEEEENS4_5KargsEEEvT0_,comdat
	.protected	_ZN5aiter22opus_moe_sorting_entryINS_32MoeSortingMultiPhaseKernel_P0_v1INS_19MoeSortingProblemMpIifiLi1ELb0ELb1ELb1EEEEENS4_5KargsEEEvT0_ ; -- Begin function _ZN5aiter22opus_moe_sorting_entryINS_32MoeSortingMultiPhaseKernel_P0_v1INS_19MoeSortingProblemMpIifiLi1ELb0ELb1ELb1EEEEENS4_5KargsEEEvT0_
	.globl	_ZN5aiter22opus_moe_sorting_entryINS_32MoeSortingMultiPhaseKernel_P0_v1INS_19MoeSortingProblemMpIifiLi1ELb0ELb1ELb1EEEEENS4_5KargsEEEvT0_
	.p2align	8
	.type	_ZN5aiter22opus_moe_sorting_entryINS_32MoeSortingMultiPhaseKernel_P0_v1INS_19MoeSortingProblemMpIifiLi1ELb0ELb1ELb1EEEEENS4_5KargsEEEvT0_,@function
_ZN5aiter22opus_moe_sorting_entryINS_32MoeSortingMultiPhaseKernel_P0_v1INS_19MoeSortingProblemMpIifiLi1ELb0ELb1ELb1EEEEENS4_5KargsEEEvT0_: ; @_ZN5aiter22opus_moe_sorting_entryINS_32MoeSortingMultiPhaseKernel_P0_v1INS_19MoeSortingProblemMpIifiLi1ELb0ELb1ELb1EEEEENS4_5KargsEEEvT0_
; %bb.0:
	s_clause 0x1
	s_load_b128 s[4:7], s[0:1], 0x0
	s_load_b32 s13, s[0:1], 0x24
	v_lshl_add_u32 v0, s15, 8, v0
	s_mov_b32 s2, exec_lo
	s_waitcnt lgkmcnt(0)
	s_load_b32 s8, s[6:7], 0x0
	s_waitcnt lgkmcnt(0)
	s_mul_i32 s9, s8, s13
	s_delay_alu instid0(SALU_CYCLE_1)
	v_cmpx_gt_i32_e64 s9, v0
	s_cbranch_execz .LBB71_5
; %bb.1:
	s_clause 0x3
	s_load_b32 s12, s[0:1], 0x30
	s_load_b64 s[2:3], s[0:1], 0x10
	s_load_b32 s10, s[0:1], 0x1c
	s_load_b64 s[6:7], s[0:1], 0x28
	s_add_i32 s0, s8, 31
	v_mov_b32_e32 v2, 0
	s_ashr_i32 s1, s0, 31
	s_sub_i32 s13, 0, s13
	s_lshr_b32 s11, s1, 27
	s_mov_b32 s1, 0
	s_add_i32 s11, s0, s11
	s_delay_alu instid0(SALU_CYCLE_1)
	s_and_not1_b32 s11, s11, 31
	s_waitcnt lgkmcnt(0)
	s_lshl_b32 s12, s12, 8
	s_set_inst_prefetch_distance 0x1
	s_branch .LBB71_3
	.p2align	6
.LBB71_2:                               ;   in Loop: Header=BB71_3 Depth=1
	s_or_b32 exec_lo, exec_lo, s0
	v_add_nc_u32_e32 v0, s12, v0
	s_delay_alu instid0(VALU_DEP_1) | instskip(SKIP_1) | instid1(SALU_CYCLE_1)
	v_cmp_le_i32_e32 vcc_lo, s9, v0
	s_or_b32 s1, vcc_lo, s1
	s_and_not1_b32 exec_lo, exec_lo, s1
	s_cbranch_execz .LBB71_5
.LBB71_3:                               ; =>This Inner Loop Header: Depth=1
	v_ashrrev_i32_e32 v1, 31, v0
	s_delay_alu instid0(VALU_DEP_1) | instskip(SKIP_1) | instid1(VALU_DEP_2)
	v_lshlrev_b64 v[3:4], 2, v[0:1]
	v_mul_hi_u32 v1, s6, v0
	v_add_co_u32 v3, vcc_lo, s4, v3
	s_delay_alu instid0(VALU_DEP_3) | instskip(NEXT) | instid1(VALU_DEP_3)
	v_add_co_ci_u32_e32 v4, vcc_lo, s5, v4, vcc_lo
	v_add_nc_u32_e32 v1, v0, v1
	global_load_b32 v3, v[3:4], off
	v_lshrrev_b32_e32 v1, s7, v1
	s_delay_alu instid0(VALU_DEP_1) | instskip(SKIP_2) | instid1(VALU_DEP_2)
	v_cmp_gt_i32_e64 s0, s8, v1
	s_waitcnt vmcnt(0)
	v_cmp_gt_i32_e32 vcc_lo, s10, v3
	s_and_b32 s14, vcc_lo, s0
	s_delay_alu instid0(SALU_CYCLE_1)
	s_and_saveexec_b32 s0, s14
	s_cbranch_execz .LBB71_2
; %bb.4:                                ;   in Loop: Header=BB71_3 Depth=1
	v_mad_u64_u32 v[4:5], null, s11, v3, v[1:2]
	v_mul_lo_u32 v6, s13, v1
	v_mov_b32_e32 v5, v2
	s_delay_alu instid0(VALU_DEP_1) | instskip(NEXT) | instid1(VALU_DEP_3)
	v_lshlrev_b64 v[3:4], 2, v[4:5]
	v_add3_u32 v1, v0, v6, 1
	s_delay_alu instid0(VALU_DEP_2) | instskip(NEXT) | instid1(VALU_DEP_2)
	v_add_co_u32 v3, vcc_lo, s2, v3
	v_and_b32_e32 v1, 0xffff, v1
	s_delay_alu instid0(VALU_DEP_4)
	v_add_co_ci_u32_e32 v4, vcc_lo, s3, v4, vcc_lo
	global_store_b32 v[3:4], v1, off
	s_branch .LBB71_2
.LBB71_5:
	s_set_inst_prefetch_distance 0x2
	s_nop 0
	s_sendmsg sendmsg(MSG_DEALLOC_VGPRS)
	s_endpgm
	.section	.rodata,"a",@progbits
	.p2align	6, 0x0
	.amdhsa_kernel _ZN5aiter22opus_moe_sorting_entryINS_32MoeSortingMultiPhaseKernel_P0_v1INS_19MoeSortingProblemMpIifiLi1ELb0ELb1ELb1EEEEENS4_5KargsEEEvT0_
		.amdhsa_group_segment_fixed_size 0
		.amdhsa_private_segment_fixed_size 0
		.amdhsa_kernarg_size 304
		.amdhsa_user_sgpr_count 15
		.amdhsa_user_sgpr_dispatch_ptr 0
		.amdhsa_user_sgpr_queue_ptr 0
		.amdhsa_user_sgpr_kernarg_segment_ptr 1
		.amdhsa_user_sgpr_dispatch_id 0
		.amdhsa_user_sgpr_private_segment_size 0
		.amdhsa_wavefront_size32 1
		.amdhsa_uses_dynamic_stack 0
		.amdhsa_enable_private_segment 0
		.amdhsa_system_sgpr_workgroup_id_x 1
		.amdhsa_system_sgpr_workgroup_id_y 0
		.amdhsa_system_sgpr_workgroup_id_z 0
		.amdhsa_system_sgpr_workgroup_info 0
		.amdhsa_system_vgpr_workitem_id 0
		.amdhsa_next_free_vgpr 7
		.amdhsa_next_free_sgpr 16
		.amdhsa_reserve_vcc 1
		.amdhsa_float_round_mode_32 0
		.amdhsa_float_round_mode_16_64 0
		.amdhsa_float_denorm_mode_32 3
		.amdhsa_float_denorm_mode_16_64 3
		.amdhsa_dx10_clamp 1
		.amdhsa_ieee_mode 1
		.amdhsa_fp16_overflow 0
		.amdhsa_workgroup_processor_mode 1
		.amdhsa_memory_ordered 1
		.amdhsa_forward_progress 0
		.amdhsa_shared_vgpr_count 0
		.amdhsa_exception_fp_ieee_invalid_op 0
		.amdhsa_exception_fp_denorm_src 0
		.amdhsa_exception_fp_ieee_div_zero 0
		.amdhsa_exception_fp_ieee_overflow 0
		.amdhsa_exception_fp_ieee_underflow 0
		.amdhsa_exception_fp_ieee_inexact 0
		.amdhsa_exception_int_div_zero 0
	.end_amdhsa_kernel
	.section	.text._ZN5aiter22opus_moe_sorting_entryINS_32MoeSortingMultiPhaseKernel_P0_v1INS_19MoeSortingProblemMpIifiLi1ELb0ELb1ELb1EEEEENS4_5KargsEEEvT0_,"axG",@progbits,_ZN5aiter22opus_moe_sorting_entryINS_32MoeSortingMultiPhaseKernel_P0_v1INS_19MoeSortingProblemMpIifiLi1ELb0ELb1ELb1EEEEENS4_5KargsEEEvT0_,comdat
.Lfunc_end71:
	.size	_ZN5aiter22opus_moe_sorting_entryINS_32MoeSortingMultiPhaseKernel_P0_v1INS_19MoeSortingProblemMpIifiLi1ELb0ELb1ELb1EEEEENS4_5KargsEEEvT0_, .Lfunc_end71-_ZN5aiter22opus_moe_sorting_entryINS_32MoeSortingMultiPhaseKernel_P0_v1INS_19MoeSortingProblemMpIifiLi1ELb0ELb1ELb1EEEEENS4_5KargsEEEvT0_
                                        ; -- End function
	.section	.AMDGPU.csdata,"",@progbits
; Kernel info:
; codeLenInByte = 372
; NumSgprs: 18
; NumVgprs: 7
; ScratchSize: 0
; MemoryBound: 0
; FloatMode: 240
; IeeeMode: 1
; LDSByteSize: 0 bytes/workgroup (compile time only)
; SGPRBlocks: 2
; VGPRBlocks: 0
; NumSGPRsForWavesPerEU: 18
; NumVGPRsForWavesPerEU: 7
; Occupancy: 16
; WaveLimiterHint : 1
; COMPUTE_PGM_RSRC2:SCRATCH_EN: 0
; COMPUTE_PGM_RSRC2:USER_SGPR: 15
; COMPUTE_PGM_RSRC2:TRAP_HANDLER: 0
; COMPUTE_PGM_RSRC2:TGID_X_EN: 1
; COMPUTE_PGM_RSRC2:TGID_Y_EN: 0
; COMPUTE_PGM_RSRC2:TGID_Z_EN: 0
; COMPUTE_PGM_RSRC2:TIDIG_COMP_CNT: 0
	.section	.text._ZN5aiter22opus_moe_sorting_entryINS_29MoeSortingMultiPhaseKernel_P1INS_19MoeSortingProblemMpIifiLi1ELb0ELb1ELb1EEEEENS4_5KargsEEEvT0_,"axG",@progbits,_ZN5aiter22opus_moe_sorting_entryINS_29MoeSortingMultiPhaseKernel_P1INS_19MoeSortingProblemMpIifiLi1ELb0ELb1ELb1EEEEENS4_5KargsEEEvT0_,comdat
	.protected	_ZN5aiter22opus_moe_sorting_entryINS_29MoeSortingMultiPhaseKernel_P1INS_19MoeSortingProblemMpIifiLi1ELb0ELb1ELb1EEEEENS4_5KargsEEEvT0_ ; -- Begin function _ZN5aiter22opus_moe_sorting_entryINS_29MoeSortingMultiPhaseKernel_P1INS_19MoeSortingProblemMpIifiLi1ELb0ELb1ELb1EEEEENS4_5KargsEEEvT0_
	.globl	_ZN5aiter22opus_moe_sorting_entryINS_29MoeSortingMultiPhaseKernel_P1INS_19MoeSortingProblemMpIifiLi1ELb0ELb1ELb1EEEEENS4_5KargsEEEvT0_
	.p2align	8
	.type	_ZN5aiter22opus_moe_sorting_entryINS_29MoeSortingMultiPhaseKernel_P1INS_19MoeSortingProblemMpIifiLi1ELb0ELb1ELb1EEEEENS4_5KargsEEEvT0_,@function
_ZN5aiter22opus_moe_sorting_entryINS_29MoeSortingMultiPhaseKernel_P1INS_19MoeSortingProblemMpIifiLi1ELb0ELb1ELb1EEEEENS4_5KargsEEEvT0_: ; @_ZN5aiter22opus_moe_sorting_entryINS_29MoeSortingMultiPhaseKernel_P1INS_19MoeSortingProblemMpIifiLi1ELb0ELb1ELb1EEEEENS4_5KargsEEEvT0_
; %bb.0:
	s_clause 0x1
	s_load_b128 s[4:7], s[0:1], 0x8
	s_load_b64 s[8:9], s[0:1], 0x18
	s_mov_b32 s2, s15
	s_mov_b32 s1, 0
	s_waitcnt lgkmcnt(0)
	s_load_b32 s0, s[4:5], 0x0
	s_waitcnt lgkmcnt(0)
	s_cmp_gt_i32 s0, 0
	s_cbranch_scc1 .LBB72_2
; %bb.1:
	s_mov_b32 s3, 0
	s_delay_alu instid0(SALU_CYCLE_1)
	v_mov_b32_e32 v3, s3
	s_and_not1_b32 vcc_lo, exec_lo, s1
	s_cbranch_vccz .LBB72_3
	s_branch .LBB72_7
.LBB72_2:
                                        ; implicit-def: $sgpr3
	v_mov_b32_e32 v3, s3
.LBB72_3:
	s_add_i32 s0, s0, 31
	v_mbcnt_lo_u32_b32 v1, -1, 0
	s_ashr_i32 s1, s0, 31
	v_mov_b32_e32 v3, 0
	s_lshr_b32 s1, s1, 27
	s_delay_alu instid0(VALU_DEP_2) | instskip(SKIP_1) | instid1(SALU_CYCLE_1)
	v_lshlrev_b32_e32 v1, 2, v1
	s_add_i32 s1, s0, s1
	s_and_not1_b32 s1, s1, 31
	s_delay_alu instid0(SALU_CYCLE_1) | instskip(NEXT) | instid1(VALU_DEP_1)
	s_mul_i32 s4, s1, s2
	v_xor_b32_e32 v4, 4, v1
	s_ashr_i32 s5, s4, 31
	v_xor_b32_e32 v5, 8, v1
	s_lshl_b64 s[4:5], s[4:5], 2
	v_xor_b32_e32 v6, 16, v1
	s_add_u32 s3, s6, s4
	s_addc_u32 s4, s7, s5
	s_add_i32 s0, s1, 0xff
	v_xor_b32_e32 v7, 32, v1
	v_xor_b32_e32 v8, 64, v1
	v_mov_b32_e32 v1, v0
	s_lshr_b32 s0, s0, 8
	s_delay_alu instid0(SALU_CYCLE_1)
	s_max_u32 s5, s0, 1
	s_set_inst_prefetch_distance 0x1
	s_branch .LBB72_5
	.p2align	6
.LBB72_4:                               ;   in Loop: Header=BB72_5 Depth=1
	s_or_b32 exec_lo, exec_lo, s0
	s_waitcnt vmcnt(0)
	v_cmp_ne_u32_e32 vcc_lo, 0, v2
	v_add_nc_u32_e32 v1, 0x100, v1
	s_add_i32 s5, s5, -1
	s_delay_alu instid0(SALU_CYCLE_1)
	s_cmp_eq_u32 s5, 0
	v_cndmask_b32_e64 v2, 0, 1, vcc_lo
	ds_bpermute_b32 v2, v4, v2
	s_waitcnt lgkmcnt(0)
	v_add_co_ci_u32_e64 v9, s0, 0, v2, vcc_lo
	ds_bpermute_b32 v9, v5, v9
	s_waitcnt lgkmcnt(0)
	v_add_co_ci_u32_e32 v2, vcc_lo, v9, v2, vcc_lo
	ds_bpermute_b32 v9, v6, v2
	s_waitcnt lgkmcnt(0)
	v_add_nc_u32_e32 v2, v2, v9
	ds_bpermute_b32 v9, v7, v2
	s_waitcnt lgkmcnt(0)
	v_add_nc_u32_e32 v2, v2, v9
	ds_bpermute_b32 v9, v8, v2
	s_waitcnt lgkmcnt(0)
	v_add3_u32 v3, v9, v3, v2
	s_cbranch_scc1 .LBB72_7
.LBB72_5:                               ; =>This Inner Loop Header: Depth=1
	v_mov_b32_e32 v2, 0
	s_mov_b32 s0, exec_lo
	v_cmpx_gt_i32_e64 s1, v1
	s_cbranch_execz .LBB72_4
; %bb.6:                                ;   in Loop: Header=BB72_5 Depth=1
	v_ashrrev_i32_e32 v2, 31, v1
	s_delay_alu instid0(VALU_DEP_1) | instskip(NEXT) | instid1(VALU_DEP_1)
	v_lshlrev_b64 v[9:10], 2, v[1:2]
	v_add_co_u32 v9, vcc_lo, s3, v9
	s_delay_alu instid0(VALU_DEP_2)
	v_add_co_ci_u32_e32 v10, vcc_lo, s4, v10, vcc_lo
	global_load_b32 v2, v[9:10], off
	s_branch .LBB72_4
.LBB72_7:
	s_set_inst_prefetch_distance 0x2
	v_and_b32_e32 v1, 31, v0
	s_mov_b32 s0, exec_lo
	s_delay_alu instid0(VALU_DEP_1)
	v_cmpx_eq_u32_e32 0, v1
	s_cbranch_execz .LBB72_9
; %bb.8:
	v_lshrrev_b32_e32 v1, 3, v0
	ds_store_b32 v1, v3
.LBB72_9:
	s_or_b32 exec_lo, exec_lo, s0
	s_waitcnt lgkmcnt(0)
	s_barrier
	buffer_gl0_inv
	s_mov_b32 s0, exec_lo
	v_cmpx_eq_u32_e32 0, v0
	s_cbranch_execz .LBB72_11
; %bb.10:
	v_mov_b32_e32 v8, 0
	s_ashr_i32 s3, s2, 31
	ds_load_b128 v[0:3], v8
	ds_load_b128 v[4:7], v8 offset:16
	s_lshl_b64 s[0:1], s[2:3], 2
	s_delay_alu instid0(SALU_CYCLE_1) | instskip(SKIP_3) | instid1(VALU_DEP_1)
	s_add_u32 s0, s8, s0
	s_addc_u32 s1, s9, s1
	s_waitcnt lgkmcnt(1)
	v_add_nc_u32_e32 v0, v1, v0
	v_add_nc_u32_e32 v0, v0, v2
	s_delay_alu instid0(VALU_DEP_1) | instskip(SKIP_1) | instid1(VALU_DEP_1)
	v_add_nc_u32_e32 v0, v0, v3
	s_waitcnt lgkmcnt(0)
	v_add_nc_u32_e32 v0, v0, v4
	s_delay_alu instid0(VALU_DEP_1) | instskip(NEXT) | instid1(VALU_DEP_1)
	v_add_nc_u32_e32 v0, v0, v5
	v_add_nc_u32_e32 v0, v0, v6
	s_delay_alu instid0(VALU_DEP_1)
	v_add_nc_u32_e32 v0, v0, v7
	global_store_b32 v8, v0, s[0:1]
.LBB72_11:
	s_nop 0
	s_sendmsg sendmsg(MSG_DEALLOC_VGPRS)
	s_endpgm
	.section	.rodata,"a",@progbits
	.p2align	6, 0x0
	.amdhsa_kernel _ZN5aiter22opus_moe_sorting_entryINS_29MoeSortingMultiPhaseKernel_P1INS_19MoeSortingProblemMpIifiLi1ELb0ELb1ELb1EEEEENS4_5KargsEEEvT0_
		.amdhsa_group_segment_fixed_size 32
		.amdhsa_private_segment_fixed_size 0
		.amdhsa_kernarg_size 40
		.amdhsa_user_sgpr_count 15
		.amdhsa_user_sgpr_dispatch_ptr 0
		.amdhsa_user_sgpr_queue_ptr 0
		.amdhsa_user_sgpr_kernarg_segment_ptr 1
		.amdhsa_user_sgpr_dispatch_id 0
		.amdhsa_user_sgpr_private_segment_size 0
		.amdhsa_wavefront_size32 1
		.amdhsa_uses_dynamic_stack 0
		.amdhsa_enable_private_segment 0
		.amdhsa_system_sgpr_workgroup_id_x 1
		.amdhsa_system_sgpr_workgroup_id_y 0
		.amdhsa_system_sgpr_workgroup_id_z 0
		.amdhsa_system_sgpr_workgroup_info 0
		.amdhsa_system_vgpr_workitem_id 0
		.amdhsa_next_free_vgpr 11
		.amdhsa_next_free_sgpr 16
		.amdhsa_reserve_vcc 1
		.amdhsa_float_round_mode_32 0
		.amdhsa_float_round_mode_16_64 0
		.amdhsa_float_denorm_mode_32 3
		.amdhsa_float_denorm_mode_16_64 3
		.amdhsa_dx10_clamp 1
		.amdhsa_ieee_mode 1
		.amdhsa_fp16_overflow 0
		.amdhsa_workgroup_processor_mode 1
		.amdhsa_memory_ordered 1
		.amdhsa_forward_progress 0
		.amdhsa_shared_vgpr_count 0
		.amdhsa_exception_fp_ieee_invalid_op 0
		.amdhsa_exception_fp_denorm_src 0
		.amdhsa_exception_fp_ieee_div_zero 0
		.amdhsa_exception_fp_ieee_overflow 0
		.amdhsa_exception_fp_ieee_underflow 0
		.amdhsa_exception_fp_ieee_inexact 0
		.amdhsa_exception_int_div_zero 0
	.end_amdhsa_kernel
	.section	.text._ZN5aiter22opus_moe_sorting_entryINS_29MoeSortingMultiPhaseKernel_P1INS_19MoeSortingProblemMpIifiLi1ELb0ELb1ELb1EEEEENS4_5KargsEEEvT0_,"axG",@progbits,_ZN5aiter22opus_moe_sorting_entryINS_29MoeSortingMultiPhaseKernel_P1INS_19MoeSortingProblemMpIifiLi1ELb0ELb1ELb1EEEEENS4_5KargsEEEvT0_,comdat
.Lfunc_end72:
	.size	_ZN5aiter22opus_moe_sorting_entryINS_29MoeSortingMultiPhaseKernel_P1INS_19MoeSortingProblemMpIifiLi1ELb0ELb1ELb1EEEEENS4_5KargsEEEvT0_, .Lfunc_end72-_ZN5aiter22opus_moe_sorting_entryINS_29MoeSortingMultiPhaseKernel_P1INS_19MoeSortingProblemMpIifiLi1ELb0ELb1ELb1EEEEENS4_5KargsEEEvT0_
                                        ; -- End function
	.section	.AMDGPU.csdata,"",@progbits
; Kernel info:
; codeLenInByte = 568
; NumSgprs: 18
; NumVgprs: 11
; ScratchSize: 0
; MemoryBound: 0
; FloatMode: 240
; IeeeMode: 1
; LDSByteSize: 32 bytes/workgroup (compile time only)
; SGPRBlocks: 2
; VGPRBlocks: 1
; NumSGPRsForWavesPerEU: 18
; NumVGPRsForWavesPerEU: 11
; Occupancy: 16
; WaveLimiterHint : 1
; COMPUTE_PGM_RSRC2:SCRATCH_EN: 0
; COMPUTE_PGM_RSRC2:USER_SGPR: 15
; COMPUTE_PGM_RSRC2:TRAP_HANDLER: 0
; COMPUTE_PGM_RSRC2:TGID_X_EN: 1
; COMPUTE_PGM_RSRC2:TGID_Y_EN: 0
; COMPUTE_PGM_RSRC2:TGID_Z_EN: 0
; COMPUTE_PGM_RSRC2:TIDIG_COMP_CNT: 0
	.section	.text._ZN5aiter22opus_moe_sorting_entryINS_32MoeSortingMultiPhaseKernel_P0_v1INS_19MoeSortingProblemMpIifiLi1ELb0ELb0ELb1EEEEENS4_5KargsEEEvT0_,"axG",@progbits,_ZN5aiter22opus_moe_sorting_entryINS_32MoeSortingMultiPhaseKernel_P0_v1INS_19MoeSortingProblemMpIifiLi1ELb0ELb0ELb1EEEEENS4_5KargsEEEvT0_,comdat
	.protected	_ZN5aiter22opus_moe_sorting_entryINS_32MoeSortingMultiPhaseKernel_P0_v1INS_19MoeSortingProblemMpIifiLi1ELb0ELb0ELb1EEEEENS4_5KargsEEEvT0_ ; -- Begin function _ZN5aiter22opus_moe_sorting_entryINS_32MoeSortingMultiPhaseKernel_P0_v1INS_19MoeSortingProblemMpIifiLi1ELb0ELb0ELb1EEEEENS4_5KargsEEEvT0_
	.globl	_ZN5aiter22opus_moe_sorting_entryINS_32MoeSortingMultiPhaseKernel_P0_v1INS_19MoeSortingProblemMpIifiLi1ELb0ELb0ELb1EEEEENS4_5KargsEEEvT0_
	.p2align	8
	.type	_ZN5aiter22opus_moe_sorting_entryINS_32MoeSortingMultiPhaseKernel_P0_v1INS_19MoeSortingProblemMpIifiLi1ELb0ELb0ELb1EEEEENS4_5KargsEEEvT0_,@function
_ZN5aiter22opus_moe_sorting_entryINS_32MoeSortingMultiPhaseKernel_P0_v1INS_19MoeSortingProblemMpIifiLi1ELb0ELb0ELb1EEEEENS4_5KargsEEEvT0_: ; @_ZN5aiter22opus_moe_sorting_entryINS_32MoeSortingMultiPhaseKernel_P0_v1INS_19MoeSortingProblemMpIifiLi1ELb0ELb0ELb1EEEEENS4_5KargsEEEvT0_
; %bb.0:
	s_load_b128 s[4:7], s[0:1], 0x18
	v_lshl_add_u32 v0, s15, 8, v0
	s_mov_b32 s2, exec_lo
	s_waitcnt lgkmcnt(0)
	s_mul_i32 s4, s7, s4
	s_delay_alu instid0(VALU_DEP_1) | instid1(SALU_CYCLE_1)
	v_cmpx_gt_i32_e64 s4, v0
	s_cbranch_execz .LBB73_5
; %bb.1:
	s_clause 0x3
	s_load_b32 s11, s[0:1], 0x30
	s_load_b64 s[2:3], s[0:1], 0x0
	s_load_b64 s[8:9], s[0:1], 0x10
	;; [unrolled: 1-line block ×3, first 2 shown]
	v_mov_b32_e32 v2, 0
	s_mov_b32 s10, 0
	s_sub_i32 s7, 0, s7
	s_waitcnt lgkmcnt(0)
	s_lshl_b32 s11, s11, 8
	s_set_inst_prefetch_distance 0x1
	s_branch .LBB73_3
	.p2align	6
.LBB73_2:                               ;   in Loop: Header=BB73_3 Depth=1
	s_or_b32 exec_lo, exec_lo, s12
	v_add_nc_u32_e32 v0, s11, v0
	s_delay_alu instid0(VALU_DEP_1) | instskip(SKIP_1) | instid1(SALU_CYCLE_1)
	v_cmp_le_i32_e32 vcc_lo, s4, v0
	s_or_b32 s10, vcc_lo, s10
	s_and_not1_b32 exec_lo, exec_lo, s10
	s_cbranch_execz .LBB73_5
.LBB73_3:                               ; =>This Inner Loop Header: Depth=1
	v_ashrrev_i32_e32 v1, 31, v0
	s_mov_b32 s12, exec_lo
	s_delay_alu instid0(VALU_DEP_1) | instskip(NEXT) | instid1(VALU_DEP_1)
	v_lshlrev_b64 v[3:4], 2, v[0:1]
	v_add_co_u32 v3, vcc_lo, s2, v3
	s_delay_alu instid0(VALU_DEP_2)
	v_add_co_ci_u32_e32 v4, vcc_lo, s3, v4, vcc_lo
	global_load_b32 v1, v[3:4], off
	s_waitcnt vmcnt(0)
	v_cmpx_gt_i32_e64 s5, v1
	s_cbranch_execz .LBB73_2
; %bb.4:                                ;   in Loop: Header=BB73_3 Depth=1
	v_mul_hi_u32 v3, s0, v0
	s_delay_alu instid0(VALU_DEP_1) | instskip(NEXT) | instid1(VALU_DEP_1)
	v_add_nc_u32_e32 v3, v0, v3
	v_lshrrev_b32_e32 v3, s1, v3
	s_delay_alu instid0(VALU_DEP_1) | instskip(SKIP_2) | instid1(VALU_DEP_1)
	v_mad_u64_u32 v[4:5], null, v1, s6, v[3:4]
	v_mul_lo_u32 v6, s7, v3
	v_mov_b32_e32 v5, v2
	v_lshlrev_b64 v[3:4], 2, v[4:5]
	s_delay_alu instid0(VALU_DEP_3) | instskip(NEXT) | instid1(VALU_DEP_2)
	v_add3_u32 v1, v0, v6, 1
	v_add_co_u32 v3, vcc_lo, s8, v3
	s_delay_alu instid0(VALU_DEP_2) | instskip(NEXT) | instid1(VALU_DEP_4)
	v_and_b32_e32 v1, 0xffff, v1
	v_add_co_ci_u32_e32 v4, vcc_lo, s9, v4, vcc_lo
	global_store_b32 v[3:4], v1, off
	s_branch .LBB73_2
.LBB73_5:
	s_set_inst_prefetch_distance 0x2
	s_nop 0
	s_sendmsg sendmsg(MSG_DEALLOC_VGPRS)
	s_endpgm
	.section	.rodata,"a",@progbits
	.p2align	6, 0x0
	.amdhsa_kernel _ZN5aiter22opus_moe_sorting_entryINS_32MoeSortingMultiPhaseKernel_P0_v1INS_19MoeSortingProblemMpIifiLi1ELb0ELb0ELb1EEEEENS4_5KargsEEEvT0_
		.amdhsa_group_segment_fixed_size 0
		.amdhsa_private_segment_fixed_size 0
		.amdhsa_kernarg_size 304
		.amdhsa_user_sgpr_count 15
		.amdhsa_user_sgpr_dispatch_ptr 0
		.amdhsa_user_sgpr_queue_ptr 0
		.amdhsa_user_sgpr_kernarg_segment_ptr 1
		.amdhsa_user_sgpr_dispatch_id 0
		.amdhsa_user_sgpr_private_segment_size 0
		.amdhsa_wavefront_size32 1
		.amdhsa_uses_dynamic_stack 0
		.amdhsa_enable_private_segment 0
		.amdhsa_system_sgpr_workgroup_id_x 1
		.amdhsa_system_sgpr_workgroup_id_y 0
		.amdhsa_system_sgpr_workgroup_id_z 0
		.amdhsa_system_sgpr_workgroup_info 0
		.amdhsa_system_vgpr_workitem_id 0
		.amdhsa_next_free_vgpr 7
		.amdhsa_next_free_sgpr 16
		.amdhsa_reserve_vcc 1
		.amdhsa_float_round_mode_32 0
		.amdhsa_float_round_mode_16_64 0
		.amdhsa_float_denorm_mode_32 3
		.amdhsa_float_denorm_mode_16_64 3
		.amdhsa_dx10_clamp 1
		.amdhsa_ieee_mode 1
		.amdhsa_fp16_overflow 0
		.amdhsa_workgroup_processor_mode 1
		.amdhsa_memory_ordered 1
		.amdhsa_forward_progress 0
		.amdhsa_shared_vgpr_count 0
		.amdhsa_exception_fp_ieee_invalid_op 0
		.amdhsa_exception_fp_denorm_src 0
		.amdhsa_exception_fp_ieee_div_zero 0
		.amdhsa_exception_fp_ieee_overflow 0
		.amdhsa_exception_fp_ieee_underflow 0
		.amdhsa_exception_fp_ieee_inexact 0
		.amdhsa_exception_int_div_zero 0
	.end_amdhsa_kernel
	.section	.text._ZN5aiter22opus_moe_sorting_entryINS_32MoeSortingMultiPhaseKernel_P0_v1INS_19MoeSortingProblemMpIifiLi1ELb0ELb0ELb1EEEEENS4_5KargsEEEvT0_,"axG",@progbits,_ZN5aiter22opus_moe_sorting_entryINS_32MoeSortingMultiPhaseKernel_P0_v1INS_19MoeSortingProblemMpIifiLi1ELb0ELb0ELb1EEEEENS4_5KargsEEEvT0_,comdat
.Lfunc_end73:
	.size	_ZN5aiter22opus_moe_sorting_entryINS_32MoeSortingMultiPhaseKernel_P0_v1INS_19MoeSortingProblemMpIifiLi1ELb0ELb0ELb1EEEEENS4_5KargsEEEvT0_, .Lfunc_end73-_ZN5aiter22opus_moe_sorting_entryINS_32MoeSortingMultiPhaseKernel_P0_v1INS_19MoeSortingProblemMpIifiLi1ELb0ELb0ELb1EEEEENS4_5KargsEEEvT0_
                                        ; -- End function
	.section	.AMDGPU.csdata,"",@progbits
; Kernel info:
; codeLenInByte = 312
; NumSgprs: 18
; NumVgprs: 7
; ScratchSize: 0
; MemoryBound: 0
; FloatMode: 240
; IeeeMode: 1
; LDSByteSize: 0 bytes/workgroup (compile time only)
; SGPRBlocks: 2
; VGPRBlocks: 0
; NumSGPRsForWavesPerEU: 18
; NumVGPRsForWavesPerEU: 7
; Occupancy: 16
; WaveLimiterHint : 1
; COMPUTE_PGM_RSRC2:SCRATCH_EN: 0
; COMPUTE_PGM_RSRC2:USER_SGPR: 15
; COMPUTE_PGM_RSRC2:TRAP_HANDLER: 0
; COMPUTE_PGM_RSRC2:TGID_X_EN: 1
; COMPUTE_PGM_RSRC2:TGID_Y_EN: 0
; COMPUTE_PGM_RSRC2:TGID_Z_EN: 0
; COMPUTE_PGM_RSRC2:TIDIG_COMP_CNT: 0
	.section	.text._ZN5aiter22opus_moe_sorting_entryINS_29MoeSortingMultiPhaseKernel_P1INS_19MoeSortingProblemMpIifiLi1ELb0ELb0ELb1EEEEENS4_5KargsEEEvT0_,"axG",@progbits,_ZN5aiter22opus_moe_sorting_entryINS_29MoeSortingMultiPhaseKernel_P1INS_19MoeSortingProblemMpIifiLi1ELb0ELb0ELb1EEEEENS4_5KargsEEEvT0_,comdat
	.protected	_ZN5aiter22opus_moe_sorting_entryINS_29MoeSortingMultiPhaseKernel_P1INS_19MoeSortingProblemMpIifiLi1ELb0ELb0ELb1EEEEENS4_5KargsEEEvT0_ ; -- Begin function _ZN5aiter22opus_moe_sorting_entryINS_29MoeSortingMultiPhaseKernel_P1INS_19MoeSortingProblemMpIifiLi1ELb0ELb0ELb1EEEEENS4_5KargsEEEvT0_
	.globl	_ZN5aiter22opus_moe_sorting_entryINS_29MoeSortingMultiPhaseKernel_P1INS_19MoeSortingProblemMpIifiLi1ELb0ELb0ELb1EEEEENS4_5KargsEEEvT0_
	.p2align	8
	.type	_ZN5aiter22opus_moe_sorting_entryINS_29MoeSortingMultiPhaseKernel_P1INS_19MoeSortingProblemMpIifiLi1ELb0ELb0ELb1EEEEENS4_5KargsEEEvT0_,@function
_ZN5aiter22opus_moe_sorting_entryINS_29MoeSortingMultiPhaseKernel_P1INS_19MoeSortingProblemMpIifiLi1ELb0ELb0ELb1EEEEENS4_5KargsEEEvT0_: ; @_ZN5aiter22opus_moe_sorting_entryINS_29MoeSortingMultiPhaseKernel_P1INS_19MoeSortingProblemMpIifiLi1ELb0ELb0ELb1EEEEENS4_5KargsEEEvT0_
; %bb.0:
	s_load_b32 s5, s[0:1], 0x20
	s_mov_b32 s4, s15
	s_mov_b32 s6, 0
	s_waitcnt lgkmcnt(0)
	s_cmp_gt_i32 s5, 0
	s_cbranch_scc1 .LBB74_2
; %bb.1:
	s_mov_b32 s7, 0
	s_load_b128 s[0:3], s[0:1], 0x10
	v_mov_b32_e32 v3, s7
	s_and_not1_b32 vcc_lo, exec_lo, s6
	s_cbranch_vccz .LBB74_3
	s_branch .LBB74_7
.LBB74_2:
                                        ; implicit-def: $sgpr7
	s_load_b128 s[0:3], s[0:1], 0x10
	v_mov_b32_e32 v3, s7
.LBB74_3:
	v_mbcnt_lo_u32_b32 v1, -1, 0
	s_mul_i32 s6, s5, s4
	v_mov_b32_e32 v3, 0
	s_ashr_i32 s7, s6, 31
	s_delay_alu instid0(SALU_CYCLE_1)
	s_lshl_b64 s[6:7], s[6:7], 2
	v_lshlrev_b32_e32 v1, 2, v1
	s_waitcnt lgkmcnt(0)
	s_add_u32 s6, s0, s6
	s_addc_u32 s1, s1, s7
	s_add_i32 s0, s5, 0xff
	v_xor_b32_e32 v4, 4, v1
	v_xor_b32_e32 v5, 8, v1
	;; [unrolled: 1-line block ×5, first 2 shown]
	v_mov_b32_e32 v1, v0
	s_lshr_b32 s7, s0, 8
	s_set_inst_prefetch_distance 0x1
	s_branch .LBB74_5
	.p2align	6
.LBB74_4:                               ;   in Loop: Header=BB74_5 Depth=1
	s_or_b32 exec_lo, exec_lo, s0
	s_waitcnt vmcnt(0)
	v_cmp_ne_u32_e32 vcc_lo, 0, v2
	v_add_nc_u32_e32 v1, 0x100, v1
	s_add_i32 s7, s7, -1
	s_delay_alu instid0(SALU_CYCLE_1)
	s_cmp_eq_u32 s7, 0
	v_cndmask_b32_e64 v2, 0, 1, vcc_lo
	ds_bpermute_b32 v2, v4, v2
	s_waitcnt lgkmcnt(0)
	v_add_co_ci_u32_e64 v9, s0, 0, v2, vcc_lo
	ds_bpermute_b32 v9, v5, v9
	s_waitcnt lgkmcnt(0)
	v_add_co_ci_u32_e32 v2, vcc_lo, v9, v2, vcc_lo
	ds_bpermute_b32 v9, v6, v2
	s_waitcnt lgkmcnt(0)
	v_add_nc_u32_e32 v2, v2, v9
	ds_bpermute_b32 v9, v7, v2
	s_waitcnt lgkmcnt(0)
	v_add_nc_u32_e32 v2, v2, v9
	ds_bpermute_b32 v9, v8, v2
	s_waitcnt lgkmcnt(0)
	v_add3_u32 v3, v9, v3, v2
	s_cbranch_scc1 .LBB74_7
.LBB74_5:                               ; =>This Inner Loop Header: Depth=1
	v_mov_b32_e32 v2, 0
	s_mov_b32 s0, exec_lo
	v_cmpx_gt_i32_e64 s5, v1
	s_cbranch_execz .LBB74_4
; %bb.6:                                ;   in Loop: Header=BB74_5 Depth=1
	v_ashrrev_i32_e32 v2, 31, v1
	s_delay_alu instid0(VALU_DEP_1) | instskip(NEXT) | instid1(VALU_DEP_1)
	v_lshlrev_b64 v[9:10], 2, v[1:2]
	v_add_co_u32 v9, vcc_lo, s6, v9
	s_delay_alu instid0(VALU_DEP_2)
	v_add_co_ci_u32_e32 v10, vcc_lo, s1, v10, vcc_lo
	global_load_b32 v2, v[9:10], off
	s_branch .LBB74_4
.LBB74_7:
	s_set_inst_prefetch_distance 0x2
	v_and_b32_e32 v1, 31, v0
	s_waitcnt lgkmcnt(0)
	s_mov_b32 s0, exec_lo
	s_delay_alu instid0(VALU_DEP_1)
	v_cmpx_eq_u32_e32 0, v1
	s_cbranch_execz .LBB74_9
; %bb.8:
	v_lshrrev_b32_e32 v1, 3, v0
	ds_store_b32 v1, v3
.LBB74_9:
	s_or_b32 exec_lo, exec_lo, s0
	s_waitcnt lgkmcnt(0)
	s_barrier
	buffer_gl0_inv
	s_mov_b32 s0, exec_lo
	v_cmpx_eq_u32_e32 0, v0
	s_cbranch_execz .LBB74_11
; %bb.10:
	v_mov_b32_e32 v8, 0
	s_ashr_i32 s5, s4, 31
	ds_load_b128 v[0:3], v8
	ds_load_b128 v[4:7], v8 offset:16
	s_lshl_b64 s[0:1], s[4:5], 2
	s_delay_alu instid0(SALU_CYCLE_1) | instskip(SKIP_3) | instid1(VALU_DEP_1)
	s_add_u32 s0, s2, s0
	s_addc_u32 s1, s3, s1
	s_waitcnt lgkmcnt(1)
	v_add_nc_u32_e32 v0, v1, v0
	v_add_nc_u32_e32 v0, v0, v2
	s_delay_alu instid0(VALU_DEP_1) | instskip(SKIP_1) | instid1(VALU_DEP_1)
	v_add_nc_u32_e32 v0, v0, v3
	s_waitcnt lgkmcnt(0)
	v_add_nc_u32_e32 v0, v0, v4
	s_delay_alu instid0(VALU_DEP_1) | instskip(NEXT) | instid1(VALU_DEP_1)
	v_add_nc_u32_e32 v0, v0, v5
	v_add_nc_u32_e32 v0, v0, v6
	s_delay_alu instid0(VALU_DEP_1)
	v_add_nc_u32_e32 v0, v0, v7
	global_store_b32 v8, v0, s[0:1]
.LBB74_11:
	s_nop 0
	s_sendmsg sendmsg(MSG_DEALLOC_VGPRS)
	s_endpgm
	.section	.rodata,"a",@progbits
	.p2align	6, 0x0
	.amdhsa_kernel _ZN5aiter22opus_moe_sorting_entryINS_29MoeSortingMultiPhaseKernel_P1INS_19MoeSortingProblemMpIifiLi1ELb0ELb0ELb1EEEEENS4_5KargsEEEvT0_
		.amdhsa_group_segment_fixed_size 32
		.amdhsa_private_segment_fixed_size 0
		.amdhsa_kernarg_size 40
		.amdhsa_user_sgpr_count 15
		.amdhsa_user_sgpr_dispatch_ptr 0
		.amdhsa_user_sgpr_queue_ptr 0
		.amdhsa_user_sgpr_kernarg_segment_ptr 1
		.amdhsa_user_sgpr_dispatch_id 0
		.amdhsa_user_sgpr_private_segment_size 0
		.amdhsa_wavefront_size32 1
		.amdhsa_uses_dynamic_stack 0
		.amdhsa_enable_private_segment 0
		.amdhsa_system_sgpr_workgroup_id_x 1
		.amdhsa_system_sgpr_workgroup_id_y 0
		.amdhsa_system_sgpr_workgroup_id_z 0
		.amdhsa_system_sgpr_workgroup_info 0
		.amdhsa_system_vgpr_workitem_id 0
		.amdhsa_next_free_vgpr 11
		.amdhsa_next_free_sgpr 16
		.amdhsa_reserve_vcc 1
		.amdhsa_float_round_mode_32 0
		.amdhsa_float_round_mode_16_64 0
		.amdhsa_float_denorm_mode_32 3
		.amdhsa_float_denorm_mode_16_64 3
		.amdhsa_dx10_clamp 1
		.amdhsa_ieee_mode 1
		.amdhsa_fp16_overflow 0
		.amdhsa_workgroup_processor_mode 1
		.amdhsa_memory_ordered 1
		.amdhsa_forward_progress 0
		.amdhsa_shared_vgpr_count 0
		.amdhsa_exception_fp_ieee_invalid_op 0
		.amdhsa_exception_fp_denorm_src 0
		.amdhsa_exception_fp_ieee_div_zero 0
		.amdhsa_exception_fp_ieee_overflow 0
		.amdhsa_exception_fp_ieee_underflow 0
		.amdhsa_exception_fp_ieee_inexact 0
		.amdhsa_exception_int_div_zero 0
	.end_amdhsa_kernel
	.section	.text._ZN5aiter22opus_moe_sorting_entryINS_29MoeSortingMultiPhaseKernel_P1INS_19MoeSortingProblemMpIifiLi1ELb0ELb0ELb1EEEEENS4_5KargsEEEvT0_,"axG",@progbits,_ZN5aiter22opus_moe_sorting_entryINS_29MoeSortingMultiPhaseKernel_P1INS_19MoeSortingProblemMpIifiLi1ELb0ELb0ELb1EEEEENS4_5KargsEEEvT0_,comdat
.Lfunc_end74:
	.size	_ZN5aiter22opus_moe_sorting_entryINS_29MoeSortingMultiPhaseKernel_P1INS_19MoeSortingProblemMpIifiLi1ELb0ELb0ELb1EEEEENS4_5KargsEEEvT0_, .Lfunc_end74-_ZN5aiter22opus_moe_sorting_entryINS_29MoeSortingMultiPhaseKernel_P1INS_19MoeSortingProblemMpIifiLi1ELb0ELb0ELb1EEEEENS4_5KargsEEEvT0_
                                        ; -- End function
	.section	.AMDGPU.csdata,"",@progbits
; Kernel info:
; codeLenInByte = 532
; NumSgprs: 18
; NumVgprs: 11
; ScratchSize: 0
; MemoryBound: 0
; FloatMode: 240
; IeeeMode: 1
; LDSByteSize: 32 bytes/workgroup (compile time only)
; SGPRBlocks: 2
; VGPRBlocks: 1
; NumSGPRsForWavesPerEU: 18
; NumVGPRsForWavesPerEU: 11
; Occupancy: 16
; WaveLimiterHint : 0
; COMPUTE_PGM_RSRC2:SCRATCH_EN: 0
; COMPUTE_PGM_RSRC2:USER_SGPR: 15
; COMPUTE_PGM_RSRC2:TRAP_HANDLER: 0
; COMPUTE_PGM_RSRC2:TGID_X_EN: 1
; COMPUTE_PGM_RSRC2:TGID_Y_EN: 0
; COMPUTE_PGM_RSRC2:TGID_Z_EN: 0
; COMPUTE_PGM_RSRC2:TIDIG_COMP_CNT: 0
	.text
	.p2alignl 7, 3214868480
	.fill 96, 4, 3214868480
	.type	__hip_cuid_f9e92410773f1e0,@object ; @__hip_cuid_f9e92410773f1e0
	.section	.bss,"aw",@nobits
	.globl	__hip_cuid_f9e92410773f1e0
__hip_cuid_f9e92410773f1e0:
	.byte	0                               ; 0x0
	.size	__hip_cuid_f9e92410773f1e0, 1

	.ident	"AMD clang version 19.0.0git (https://github.com/RadeonOpenCompute/llvm-project roc-6.4.0 25133 c7fe45cf4b819c5991fe208aaa96edf142730f1d)"
	.section	".note.GNU-stack","",@progbits
	.addrsig
	.addrsig_sym __hip_cuid_f9e92410773f1e0
	.amdgpu_metadata
---
amdhsa.kernels:
  - .args:           []
    .group_segment_fixed_size: 0
    .kernarg_segment_align: 4
    .kernarg_segment_size: 0
    .language:       OpenCL C
    .language_version:
      - 2
      - 0
    .max_flat_workgroup_size: 1024
    .name:           _ZN7ck_tileL11flush_cacheEv
    .private_segment_fixed_size: 0
    .sgpr_count:     0
    .sgpr_spill_count: 0
    .symbol:         _ZN7ck_tileL11flush_cacheEv.kd
    .uniform_work_group_size: 1
    .uses_dynamic_stack: false
    .vgpr_count:     0
    .vgpr_spill_count: 0
    .wavefront_size: 32
    .workgroup_processor_mode: 1
  - .args:
      - .offset:         0
        .size:           144
        .value_kind:     by_value
      - .offset:         144
        .size:           4
        .value_kind:     hidden_block_count_x
      - .offset:         148
        .size:           4
        .value_kind:     hidden_block_count_y
      - .offset:         152
        .size:           4
        .value_kind:     hidden_block_count_z
      - .offset:         156
        .size:           2
        .value_kind:     hidden_group_size_x
      - .offset:         158
        .size:           2
        .value_kind:     hidden_group_size_y
      - .offset:         160
        .size:           2
        .value_kind:     hidden_group_size_z
      - .offset:         162
        .size:           2
        .value_kind:     hidden_remainder_x
      - .offset:         164
        .size:           2
        .value_kind:     hidden_remainder_y
      - .offset:         166
        .size:           2
        .value_kind:     hidden_remainder_z
      - .offset:         184
        .size:           8
        .value_kind:     hidden_global_offset_x
      - .offset:         192
        .size:           8
        .value_kind:     hidden_global_offset_y
      - .offset:         200
        .size:           8
        .value_kind:     hidden_global_offset_z
      - .offset:         208
        .size:           2
        .value_kind:     hidden_grid_dims
      - .offset:         264
        .size:           4
        .value_kind:     hidden_dynamic_lds_size
    .group_segment_fixed_size: 0
    .kernarg_segment_align: 8
    .kernarg_segment_size: 400
    .language:       OpenCL C
    .language_version:
      - 2
      - 0
    .max_flat_workgroup_size: 1024
    .name:           _ZN5aiter22opus_moe_sorting_entryINS_16MoeSortingKernelINS_19MoeSortingProblemExIifLi8ELb1ELb1ELb1ELb1ELi0EEEEENS4_5KargsEEEvT0_
    .private_segment_fixed_size: 0
    .sgpr_count:     50
    .sgpr_spill_count: 0
    .symbol:         _ZN5aiter22opus_moe_sorting_entryINS_16MoeSortingKernelINS_19MoeSortingProblemExIifLi8ELb1ELb1ELb1ELb1ELi0EEEEENS4_5KargsEEEvT0_.kd
    .uniform_work_group_size: 1
    .uses_dynamic_stack: false
    .vgpr_count:     29
    .vgpr_spill_count: 0
    .wavefront_size: 32
    .workgroup_processor_mode: 1
  - .args:
      - .offset:         0
        .size:           144
        .value_kind:     by_value
      - .offset:         144
        .size:           4
        .value_kind:     hidden_block_count_x
      - .offset:         148
        .size:           4
        .value_kind:     hidden_block_count_y
      - .offset:         152
        .size:           4
        .value_kind:     hidden_block_count_z
      - .offset:         156
        .size:           2
        .value_kind:     hidden_group_size_x
      - .offset:         158
        .size:           2
        .value_kind:     hidden_group_size_y
      - .offset:         160
        .size:           2
        .value_kind:     hidden_group_size_z
      - .offset:         162
        .size:           2
        .value_kind:     hidden_remainder_x
      - .offset:         164
        .size:           2
        .value_kind:     hidden_remainder_y
      - .offset:         166
        .size:           2
        .value_kind:     hidden_remainder_z
      - .offset:         184
        .size:           8
        .value_kind:     hidden_global_offset_x
      - .offset:         192
        .size:           8
        .value_kind:     hidden_global_offset_y
      - .offset:         200
        .size:           8
        .value_kind:     hidden_global_offset_z
      - .offset:         208
        .size:           2
        .value_kind:     hidden_grid_dims
      - .offset:         264
        .size:           4
        .value_kind:     hidden_dynamic_lds_size
    .group_segment_fixed_size: 0
    .kernarg_segment_align: 8
    .kernarg_segment_size: 400
    .language:       OpenCL C
    .language_version:
      - 2
      - 0
    .max_flat_workgroup_size: 1024
    .name:           _ZN5aiter22opus_moe_sorting_entryINS_16MoeSortingKernelINS_19MoeSortingProblemExIifLi4ELb1ELb1ELb1ELb1ELi0EEEEENS4_5KargsEEEvT0_
    .private_segment_fixed_size: 0
    .sgpr_count:     42
    .sgpr_spill_count: 0
    .symbol:         _ZN5aiter22opus_moe_sorting_entryINS_16MoeSortingKernelINS_19MoeSortingProblemExIifLi4ELb1ELb1ELb1ELb1ELi0EEEEENS4_5KargsEEEvT0_.kd
    .uniform_work_group_size: 1
    .uses_dynamic_stack: false
    .vgpr_count:     27
    .vgpr_spill_count: 0
    .wavefront_size: 32
    .workgroup_processor_mode: 1
  - .args:
      - .offset:         0
        .size:           144
        .value_kind:     by_value
      - .offset:         144
        .size:           4
        .value_kind:     hidden_block_count_x
      - .offset:         148
        .size:           4
        .value_kind:     hidden_block_count_y
      - .offset:         152
        .size:           4
        .value_kind:     hidden_block_count_z
      - .offset:         156
        .size:           2
        .value_kind:     hidden_group_size_x
      - .offset:         158
        .size:           2
        .value_kind:     hidden_group_size_y
      - .offset:         160
        .size:           2
        .value_kind:     hidden_group_size_z
      - .offset:         162
        .size:           2
        .value_kind:     hidden_remainder_x
      - .offset:         164
        .size:           2
        .value_kind:     hidden_remainder_y
      - .offset:         166
        .size:           2
        .value_kind:     hidden_remainder_z
      - .offset:         184
        .size:           8
        .value_kind:     hidden_global_offset_x
      - .offset:         192
        .size:           8
        .value_kind:     hidden_global_offset_y
      - .offset:         200
        .size:           8
        .value_kind:     hidden_global_offset_z
      - .offset:         208
        .size:           2
        .value_kind:     hidden_grid_dims
      - .offset:         264
        .size:           4
        .value_kind:     hidden_dynamic_lds_size
    .group_segment_fixed_size: 0
    .kernarg_segment_align: 8
    .kernarg_segment_size: 400
    .language:       OpenCL C
    .language_version:
      - 2
      - 0
    .max_flat_workgroup_size: 1024
    .name:           _ZN5aiter22opus_moe_sorting_entryINS_16MoeSortingKernelINS_19MoeSortingProblemExIifLi2ELb1ELb1ELb1ELb1ELi0EEEEENS4_5KargsEEEvT0_
    .private_segment_fixed_size: 0
    .sgpr_count:     46
    .sgpr_spill_count: 0
    .symbol:         _ZN5aiter22opus_moe_sorting_entryINS_16MoeSortingKernelINS_19MoeSortingProblemExIifLi2ELb1ELb1ELb1ELb1ELi0EEEEENS4_5KargsEEEvT0_.kd
    .uniform_work_group_size: 1
    .uses_dynamic_stack: false
    .vgpr_count:     21
    .vgpr_spill_count: 0
    .wavefront_size: 32
    .workgroup_processor_mode: 1
  - .args:
      - .offset:         0
        .size:           144
        .value_kind:     by_value
      - .offset:         144
        .size:           4
        .value_kind:     hidden_block_count_x
      - .offset:         148
        .size:           4
        .value_kind:     hidden_block_count_y
      - .offset:         152
        .size:           4
        .value_kind:     hidden_block_count_z
      - .offset:         156
        .size:           2
        .value_kind:     hidden_group_size_x
      - .offset:         158
        .size:           2
        .value_kind:     hidden_group_size_y
      - .offset:         160
        .size:           2
        .value_kind:     hidden_group_size_z
      - .offset:         162
        .size:           2
        .value_kind:     hidden_remainder_x
      - .offset:         164
        .size:           2
        .value_kind:     hidden_remainder_y
      - .offset:         166
        .size:           2
        .value_kind:     hidden_remainder_z
      - .offset:         184
        .size:           8
        .value_kind:     hidden_global_offset_x
      - .offset:         192
        .size:           8
        .value_kind:     hidden_global_offset_y
      - .offset:         200
        .size:           8
        .value_kind:     hidden_global_offset_z
      - .offset:         208
        .size:           2
        .value_kind:     hidden_grid_dims
      - .offset:         264
        .size:           4
        .value_kind:     hidden_dynamic_lds_size
    .group_segment_fixed_size: 0
    .kernarg_segment_align: 8
    .kernarg_segment_size: 400
    .language:       OpenCL C
    .language_version:
      - 2
      - 0
    .max_flat_workgroup_size: 1024
    .name:           _ZN5aiter22opus_moe_sorting_entryINS_16MoeSortingKernelINS_19MoeSortingProblemExIifLi1ELb1ELb1ELb1ELb1ELi0EEEEENS4_5KargsEEEvT0_
    .private_segment_fixed_size: 0
    .sgpr_count:     46
    .sgpr_spill_count: 0
    .symbol:         _ZN5aiter22opus_moe_sorting_entryINS_16MoeSortingKernelINS_19MoeSortingProblemExIifLi1ELb1ELb1ELb1ELb1ELi0EEEEENS4_5KargsEEEvT0_.kd
    .uniform_work_group_size: 1
    .uses_dynamic_stack: false
    .vgpr_count:     21
    .vgpr_spill_count: 0
    .wavefront_size: 32
    .workgroup_processor_mode: 1
  - .args:
      - .offset:         0
        .size:           144
        .value_kind:     by_value
      - .offset:         144
        .size:           4
        .value_kind:     hidden_block_count_x
      - .offset:         148
        .size:           4
        .value_kind:     hidden_block_count_y
      - .offset:         152
        .size:           4
        .value_kind:     hidden_block_count_z
      - .offset:         156
        .size:           2
        .value_kind:     hidden_group_size_x
      - .offset:         158
        .size:           2
        .value_kind:     hidden_group_size_y
      - .offset:         160
        .size:           2
        .value_kind:     hidden_group_size_z
      - .offset:         162
        .size:           2
        .value_kind:     hidden_remainder_x
      - .offset:         164
        .size:           2
        .value_kind:     hidden_remainder_y
      - .offset:         166
        .size:           2
        .value_kind:     hidden_remainder_z
      - .offset:         184
        .size:           8
        .value_kind:     hidden_global_offset_x
      - .offset:         192
        .size:           8
        .value_kind:     hidden_global_offset_y
      - .offset:         200
        .size:           8
        .value_kind:     hidden_global_offset_z
      - .offset:         208
        .size:           2
        .value_kind:     hidden_grid_dims
      - .offset:         264
        .size:           4
        .value_kind:     hidden_dynamic_lds_size
    .group_segment_fixed_size: 0
    .kernarg_segment_align: 8
    .kernarg_segment_size: 400
    .language:       OpenCL C
    .language_version:
      - 2
      - 0
    .max_flat_workgroup_size: 1024
    .name:           _ZN5aiter22opus_moe_sorting_entryINS_16MoeSortingKernelINS_19MoeSortingProblemExIifLi8ELb1ELb1ELb0ELb1ELi0EEEEENS4_5KargsEEEvT0_
    .private_segment_fixed_size: 0
    .sgpr_count:     46
    .sgpr_spill_count: 0
    .symbol:         _ZN5aiter22opus_moe_sorting_entryINS_16MoeSortingKernelINS_19MoeSortingProblemExIifLi8ELb1ELb1ELb0ELb1ELi0EEEEENS4_5KargsEEEvT0_.kd
    .uniform_work_group_size: 1
    .uses_dynamic_stack: false
    .vgpr_count:     29
    .vgpr_spill_count: 0
    .wavefront_size: 32
    .workgroup_processor_mode: 1
  - .args:
      - .offset:         0
        .size:           144
        .value_kind:     by_value
      - .offset:         144
        .size:           4
        .value_kind:     hidden_block_count_x
      - .offset:         148
        .size:           4
        .value_kind:     hidden_block_count_y
      - .offset:         152
        .size:           4
        .value_kind:     hidden_block_count_z
      - .offset:         156
        .size:           2
        .value_kind:     hidden_group_size_x
      - .offset:         158
        .size:           2
        .value_kind:     hidden_group_size_y
      - .offset:         160
        .size:           2
        .value_kind:     hidden_group_size_z
      - .offset:         162
        .size:           2
        .value_kind:     hidden_remainder_x
      - .offset:         164
        .size:           2
        .value_kind:     hidden_remainder_y
      - .offset:         166
        .size:           2
        .value_kind:     hidden_remainder_z
      - .offset:         184
        .size:           8
        .value_kind:     hidden_global_offset_x
      - .offset:         192
        .size:           8
        .value_kind:     hidden_global_offset_y
      - .offset:         200
        .size:           8
        .value_kind:     hidden_global_offset_z
      - .offset:         208
        .size:           2
        .value_kind:     hidden_grid_dims
      - .offset:         264
        .size:           4
        .value_kind:     hidden_dynamic_lds_size
    .group_segment_fixed_size: 0
    .kernarg_segment_align: 8
    .kernarg_segment_size: 400
    .language:       OpenCL C
    .language_version:
      - 2
      - 0
    .max_flat_workgroup_size: 1024
    .name:           _ZN5aiter22opus_moe_sorting_entryINS_16MoeSortingKernelINS_19MoeSortingProblemExIifLi4ELb1ELb1ELb0ELb1ELi0EEEEENS4_5KargsEEEvT0_
    .private_segment_fixed_size: 0
    .sgpr_count:     42
    .sgpr_spill_count: 0
    .symbol:         _ZN5aiter22opus_moe_sorting_entryINS_16MoeSortingKernelINS_19MoeSortingProblemExIifLi4ELb1ELb1ELb0ELb1ELi0EEEEENS4_5KargsEEEvT0_.kd
    .uniform_work_group_size: 1
    .uses_dynamic_stack: false
    .vgpr_count:     27
    .vgpr_spill_count: 0
    .wavefront_size: 32
    .workgroup_processor_mode: 1
  - .args:
      - .offset:         0
        .size:           144
        .value_kind:     by_value
      - .offset:         144
        .size:           4
        .value_kind:     hidden_block_count_x
      - .offset:         148
        .size:           4
        .value_kind:     hidden_block_count_y
      - .offset:         152
        .size:           4
        .value_kind:     hidden_block_count_z
      - .offset:         156
        .size:           2
        .value_kind:     hidden_group_size_x
      - .offset:         158
        .size:           2
        .value_kind:     hidden_group_size_y
      - .offset:         160
        .size:           2
        .value_kind:     hidden_group_size_z
      - .offset:         162
        .size:           2
        .value_kind:     hidden_remainder_x
      - .offset:         164
        .size:           2
        .value_kind:     hidden_remainder_y
      - .offset:         166
        .size:           2
        .value_kind:     hidden_remainder_z
      - .offset:         184
        .size:           8
        .value_kind:     hidden_global_offset_x
      - .offset:         192
        .size:           8
        .value_kind:     hidden_global_offset_y
      - .offset:         200
        .size:           8
        .value_kind:     hidden_global_offset_z
      - .offset:         208
        .size:           2
        .value_kind:     hidden_grid_dims
      - .offset:         264
        .size:           4
        .value_kind:     hidden_dynamic_lds_size
    .group_segment_fixed_size: 0
    .kernarg_segment_align: 8
    .kernarg_segment_size: 400
    .language:       OpenCL C
    .language_version:
      - 2
      - 0
    .max_flat_workgroup_size: 1024
    .name:           _ZN5aiter22opus_moe_sorting_entryINS_16MoeSortingKernelINS_19MoeSortingProblemExIifLi2ELb1ELb1ELb0ELb1ELi0EEEEENS4_5KargsEEEvT0_
    .private_segment_fixed_size: 0
    .sgpr_count:     42
    .sgpr_spill_count: 0
    .symbol:         _ZN5aiter22opus_moe_sorting_entryINS_16MoeSortingKernelINS_19MoeSortingProblemExIifLi2ELb1ELb1ELb0ELb1ELi0EEEEENS4_5KargsEEEvT0_.kd
    .uniform_work_group_size: 1
    .uses_dynamic_stack: false
    .vgpr_count:     21
    .vgpr_spill_count: 0
    .wavefront_size: 32
    .workgroup_processor_mode: 1
  - .args:
      - .offset:         0
        .size:           144
        .value_kind:     by_value
      - .offset:         144
        .size:           4
        .value_kind:     hidden_block_count_x
      - .offset:         148
        .size:           4
        .value_kind:     hidden_block_count_y
      - .offset:         152
        .size:           4
        .value_kind:     hidden_block_count_z
      - .offset:         156
        .size:           2
        .value_kind:     hidden_group_size_x
      - .offset:         158
        .size:           2
        .value_kind:     hidden_group_size_y
      - .offset:         160
        .size:           2
        .value_kind:     hidden_group_size_z
      - .offset:         162
        .size:           2
        .value_kind:     hidden_remainder_x
      - .offset:         164
        .size:           2
        .value_kind:     hidden_remainder_y
      - .offset:         166
        .size:           2
        .value_kind:     hidden_remainder_z
      - .offset:         184
        .size:           8
        .value_kind:     hidden_global_offset_x
      - .offset:         192
        .size:           8
        .value_kind:     hidden_global_offset_y
      - .offset:         200
        .size:           8
        .value_kind:     hidden_global_offset_z
      - .offset:         208
        .size:           2
        .value_kind:     hidden_grid_dims
      - .offset:         264
        .size:           4
        .value_kind:     hidden_dynamic_lds_size
    .group_segment_fixed_size: 0
    .kernarg_segment_align: 8
    .kernarg_segment_size: 400
    .language:       OpenCL C
    .language_version:
      - 2
      - 0
    .max_flat_workgroup_size: 1024
    .name:           _ZN5aiter22opus_moe_sorting_entryINS_16MoeSortingKernelINS_19MoeSortingProblemExIifLi1ELb1ELb1ELb0ELb1ELi0EEEEENS4_5KargsEEEvT0_
    .private_segment_fixed_size: 0
    .sgpr_count:     42
    .sgpr_spill_count: 0
    .symbol:         _ZN5aiter22opus_moe_sorting_entryINS_16MoeSortingKernelINS_19MoeSortingProblemExIifLi1ELb1ELb1ELb0ELb1ELi0EEEEENS4_5KargsEEEvT0_.kd
    .uniform_work_group_size: 1
    .uses_dynamic_stack: false
    .vgpr_count:     21
    .vgpr_spill_count: 0
    .wavefront_size: 32
    .workgroup_processor_mode: 1
  - .args:
      - .offset:         0
        .size:           144
        .value_kind:     by_value
      - .offset:         144
        .size:           4
        .value_kind:     hidden_block_count_x
      - .offset:         148
        .size:           4
        .value_kind:     hidden_block_count_y
      - .offset:         152
        .size:           4
        .value_kind:     hidden_block_count_z
      - .offset:         156
        .size:           2
        .value_kind:     hidden_group_size_x
      - .offset:         158
        .size:           2
        .value_kind:     hidden_group_size_y
      - .offset:         160
        .size:           2
        .value_kind:     hidden_group_size_z
      - .offset:         162
        .size:           2
        .value_kind:     hidden_remainder_x
      - .offset:         164
        .size:           2
        .value_kind:     hidden_remainder_y
      - .offset:         166
        .size:           2
        .value_kind:     hidden_remainder_z
      - .offset:         184
        .size:           8
        .value_kind:     hidden_global_offset_x
      - .offset:         192
        .size:           8
        .value_kind:     hidden_global_offset_y
      - .offset:         200
        .size:           8
        .value_kind:     hidden_global_offset_z
      - .offset:         208
        .size:           2
        .value_kind:     hidden_grid_dims
      - .offset:         264
        .size:           4
        .value_kind:     hidden_dynamic_lds_size
    .group_segment_fixed_size: 0
    .kernarg_segment_align: 8
    .kernarg_segment_size: 400
    .language:       OpenCL C
    .language_version:
      - 2
      - 0
    .max_flat_workgroup_size: 1024
    .name:           _ZN5aiter22opus_moe_sorting_entryINS_16MoeSortingKernelINS_19MoeSortingProblemExIifLi8ELb0ELb1ELb1ELb1ELi0EEEEENS4_5KargsEEEvT0_
    .private_segment_fixed_size: 0
    .sgpr_count:     50
    .sgpr_spill_count: 0
    .symbol:         _ZN5aiter22opus_moe_sorting_entryINS_16MoeSortingKernelINS_19MoeSortingProblemExIifLi8ELb0ELb1ELb1ELb1ELi0EEEEENS4_5KargsEEEvT0_.kd
    .uniform_work_group_size: 1
    .uses_dynamic_stack: false
    .vgpr_count:     30
    .vgpr_spill_count: 0
    .wavefront_size: 32
    .workgroup_processor_mode: 1
  - .args:
      - .offset:         0
        .size:           144
        .value_kind:     by_value
      - .offset:         144
        .size:           4
        .value_kind:     hidden_block_count_x
      - .offset:         148
        .size:           4
        .value_kind:     hidden_block_count_y
      - .offset:         152
        .size:           4
        .value_kind:     hidden_block_count_z
      - .offset:         156
        .size:           2
        .value_kind:     hidden_group_size_x
      - .offset:         158
        .size:           2
        .value_kind:     hidden_group_size_y
      - .offset:         160
        .size:           2
        .value_kind:     hidden_group_size_z
      - .offset:         162
        .size:           2
        .value_kind:     hidden_remainder_x
      - .offset:         164
        .size:           2
        .value_kind:     hidden_remainder_y
      - .offset:         166
        .size:           2
        .value_kind:     hidden_remainder_z
      - .offset:         184
        .size:           8
        .value_kind:     hidden_global_offset_x
      - .offset:         192
        .size:           8
        .value_kind:     hidden_global_offset_y
      - .offset:         200
        .size:           8
        .value_kind:     hidden_global_offset_z
      - .offset:         208
        .size:           2
        .value_kind:     hidden_grid_dims
      - .offset:         264
        .size:           4
        .value_kind:     hidden_dynamic_lds_size
    .group_segment_fixed_size: 0
    .kernarg_segment_align: 8
    .kernarg_segment_size: 400
    .language:       OpenCL C
    .language_version:
      - 2
      - 0
    .max_flat_workgroup_size: 1024
    .name:           _ZN5aiter22opus_moe_sorting_entryINS_16MoeSortingKernelINS_19MoeSortingProblemExIifLi4ELb0ELb1ELb1ELb1ELi0EEEEENS4_5KargsEEEvT0_
    .private_segment_fixed_size: 0
    .sgpr_count:     50
    .sgpr_spill_count: 0
    .symbol:         _ZN5aiter22opus_moe_sorting_entryINS_16MoeSortingKernelINS_19MoeSortingProblemExIifLi4ELb0ELb1ELb1ELb1ELi0EEEEENS4_5KargsEEEvT0_.kd
    .uniform_work_group_size: 1
    .uses_dynamic_stack: false
    .vgpr_count:     28
    .vgpr_spill_count: 0
    .wavefront_size: 32
    .workgroup_processor_mode: 1
  - .args:
      - .offset:         0
        .size:           144
        .value_kind:     by_value
      - .offset:         144
        .size:           4
        .value_kind:     hidden_block_count_x
      - .offset:         148
        .size:           4
        .value_kind:     hidden_block_count_y
      - .offset:         152
        .size:           4
        .value_kind:     hidden_block_count_z
      - .offset:         156
        .size:           2
        .value_kind:     hidden_group_size_x
      - .offset:         158
        .size:           2
        .value_kind:     hidden_group_size_y
      - .offset:         160
        .size:           2
        .value_kind:     hidden_group_size_z
      - .offset:         162
        .size:           2
        .value_kind:     hidden_remainder_x
      - .offset:         164
        .size:           2
        .value_kind:     hidden_remainder_y
      - .offset:         166
        .size:           2
        .value_kind:     hidden_remainder_z
      - .offset:         184
        .size:           8
        .value_kind:     hidden_global_offset_x
      - .offset:         192
        .size:           8
        .value_kind:     hidden_global_offset_y
      - .offset:         200
        .size:           8
        .value_kind:     hidden_global_offset_z
      - .offset:         208
        .size:           2
        .value_kind:     hidden_grid_dims
      - .offset:         264
        .size:           4
        .value_kind:     hidden_dynamic_lds_size
    .group_segment_fixed_size: 0
    .kernarg_segment_align: 8
    .kernarg_segment_size: 400
    .language:       OpenCL C
    .language_version:
      - 2
      - 0
    .max_flat_workgroup_size: 1024
    .name:           _ZN5aiter22opus_moe_sorting_entryINS_16MoeSortingKernelINS_19MoeSortingProblemExIifLi2ELb0ELb1ELb1ELb1ELi0EEEEENS4_5KargsEEEvT0_
    .private_segment_fixed_size: 0
    .sgpr_count:     50
    .sgpr_spill_count: 0
    .symbol:         _ZN5aiter22opus_moe_sorting_entryINS_16MoeSortingKernelINS_19MoeSortingProblemExIifLi2ELb0ELb1ELb1ELb1ELi0EEEEENS4_5KargsEEEvT0_.kd
    .uniform_work_group_size: 1
    .uses_dynamic_stack: false
    .vgpr_count:     26
    .vgpr_spill_count: 0
    .wavefront_size: 32
    .workgroup_processor_mode: 1
  - .args:
      - .offset:         0
        .size:           144
        .value_kind:     by_value
      - .offset:         144
        .size:           4
        .value_kind:     hidden_block_count_x
      - .offset:         148
        .size:           4
        .value_kind:     hidden_block_count_y
      - .offset:         152
        .size:           4
        .value_kind:     hidden_block_count_z
      - .offset:         156
        .size:           2
        .value_kind:     hidden_group_size_x
      - .offset:         158
        .size:           2
        .value_kind:     hidden_group_size_y
      - .offset:         160
        .size:           2
        .value_kind:     hidden_group_size_z
      - .offset:         162
        .size:           2
        .value_kind:     hidden_remainder_x
      - .offset:         164
        .size:           2
        .value_kind:     hidden_remainder_y
      - .offset:         166
        .size:           2
        .value_kind:     hidden_remainder_z
      - .offset:         184
        .size:           8
        .value_kind:     hidden_global_offset_x
      - .offset:         192
        .size:           8
        .value_kind:     hidden_global_offset_y
      - .offset:         200
        .size:           8
        .value_kind:     hidden_global_offset_z
      - .offset:         208
        .size:           2
        .value_kind:     hidden_grid_dims
      - .offset:         264
        .size:           4
        .value_kind:     hidden_dynamic_lds_size
    .group_segment_fixed_size: 0
    .kernarg_segment_align: 8
    .kernarg_segment_size: 400
    .language:       OpenCL C
    .language_version:
      - 2
      - 0
    .max_flat_workgroup_size: 1024
    .name:           _ZN5aiter22opus_moe_sorting_entryINS_16MoeSortingKernelINS_19MoeSortingProblemExIifLi1ELb0ELb1ELb1ELb1ELi0EEEEENS4_5KargsEEEvT0_
    .private_segment_fixed_size: 0
    .sgpr_count:     50
    .sgpr_spill_count: 0
    .symbol:         _ZN5aiter22opus_moe_sorting_entryINS_16MoeSortingKernelINS_19MoeSortingProblemExIifLi1ELb0ELb1ELb1ELb1ELi0EEEEENS4_5KargsEEEvT0_.kd
    .uniform_work_group_size: 1
    .uses_dynamic_stack: false
    .vgpr_count:     26
    .vgpr_spill_count: 0
    .wavefront_size: 32
    .workgroup_processor_mode: 1
  - .args:
      - .offset:         0
        .size:           144
        .value_kind:     by_value
      - .offset:         144
        .size:           4
        .value_kind:     hidden_block_count_x
      - .offset:         148
        .size:           4
        .value_kind:     hidden_block_count_y
      - .offset:         152
        .size:           4
        .value_kind:     hidden_block_count_z
      - .offset:         156
        .size:           2
        .value_kind:     hidden_group_size_x
      - .offset:         158
        .size:           2
        .value_kind:     hidden_group_size_y
      - .offset:         160
        .size:           2
        .value_kind:     hidden_group_size_z
      - .offset:         162
        .size:           2
        .value_kind:     hidden_remainder_x
      - .offset:         164
        .size:           2
        .value_kind:     hidden_remainder_y
      - .offset:         166
        .size:           2
        .value_kind:     hidden_remainder_z
      - .offset:         184
        .size:           8
        .value_kind:     hidden_global_offset_x
      - .offset:         192
        .size:           8
        .value_kind:     hidden_global_offset_y
      - .offset:         200
        .size:           8
        .value_kind:     hidden_global_offset_z
      - .offset:         208
        .size:           2
        .value_kind:     hidden_grid_dims
      - .offset:         264
        .size:           4
        .value_kind:     hidden_dynamic_lds_size
    .group_segment_fixed_size: 0
    .kernarg_segment_align: 8
    .kernarg_segment_size: 400
    .language:       OpenCL C
    .language_version:
      - 2
      - 0
    .max_flat_workgroup_size: 1024
    .name:           _ZN5aiter22opus_moe_sorting_entryINS_16MoeSortingKernelINS_19MoeSortingProblemExIifLi8ELb0ELb1ELb0ELb1ELi0EEEEENS4_5KargsEEEvT0_
    .private_segment_fixed_size: 0
    .sgpr_count:     50
    .sgpr_spill_count: 0
    .symbol:         _ZN5aiter22opus_moe_sorting_entryINS_16MoeSortingKernelINS_19MoeSortingProblemExIifLi8ELb0ELb1ELb0ELb1ELi0EEEEENS4_5KargsEEEvT0_.kd
    .uniform_work_group_size: 1
    .uses_dynamic_stack: false
    .vgpr_count:     30
    .vgpr_spill_count: 0
    .wavefront_size: 32
    .workgroup_processor_mode: 1
  - .args:
      - .offset:         0
        .size:           144
        .value_kind:     by_value
      - .offset:         144
        .size:           4
        .value_kind:     hidden_block_count_x
      - .offset:         148
        .size:           4
        .value_kind:     hidden_block_count_y
      - .offset:         152
        .size:           4
        .value_kind:     hidden_block_count_z
      - .offset:         156
        .size:           2
        .value_kind:     hidden_group_size_x
      - .offset:         158
        .size:           2
        .value_kind:     hidden_group_size_y
      - .offset:         160
        .size:           2
        .value_kind:     hidden_group_size_z
      - .offset:         162
        .size:           2
        .value_kind:     hidden_remainder_x
      - .offset:         164
        .size:           2
        .value_kind:     hidden_remainder_y
      - .offset:         166
        .size:           2
        .value_kind:     hidden_remainder_z
      - .offset:         184
        .size:           8
        .value_kind:     hidden_global_offset_x
      - .offset:         192
        .size:           8
        .value_kind:     hidden_global_offset_y
      - .offset:         200
        .size:           8
        .value_kind:     hidden_global_offset_z
      - .offset:         208
        .size:           2
        .value_kind:     hidden_grid_dims
      - .offset:         264
        .size:           4
        .value_kind:     hidden_dynamic_lds_size
    .group_segment_fixed_size: 0
    .kernarg_segment_align: 8
    .kernarg_segment_size: 400
    .language:       OpenCL C
    .language_version:
      - 2
      - 0
    .max_flat_workgroup_size: 1024
    .name:           _ZN5aiter22opus_moe_sorting_entryINS_16MoeSortingKernelINS_19MoeSortingProblemExIifLi4ELb0ELb1ELb0ELb1ELi0EEEEENS4_5KargsEEEvT0_
    .private_segment_fixed_size: 0
    .sgpr_count:     50
    .sgpr_spill_count: 0
    .symbol:         _ZN5aiter22opus_moe_sorting_entryINS_16MoeSortingKernelINS_19MoeSortingProblemExIifLi4ELb0ELb1ELb0ELb1ELi0EEEEENS4_5KargsEEEvT0_.kd
    .uniform_work_group_size: 1
    .uses_dynamic_stack: false
    .vgpr_count:     28
    .vgpr_spill_count: 0
    .wavefront_size: 32
    .workgroup_processor_mode: 1
  - .args:
      - .offset:         0
        .size:           144
        .value_kind:     by_value
      - .offset:         144
        .size:           4
        .value_kind:     hidden_block_count_x
      - .offset:         148
        .size:           4
        .value_kind:     hidden_block_count_y
      - .offset:         152
        .size:           4
        .value_kind:     hidden_block_count_z
      - .offset:         156
        .size:           2
        .value_kind:     hidden_group_size_x
      - .offset:         158
        .size:           2
        .value_kind:     hidden_group_size_y
      - .offset:         160
        .size:           2
        .value_kind:     hidden_group_size_z
      - .offset:         162
        .size:           2
        .value_kind:     hidden_remainder_x
      - .offset:         164
        .size:           2
        .value_kind:     hidden_remainder_y
      - .offset:         166
        .size:           2
        .value_kind:     hidden_remainder_z
      - .offset:         184
        .size:           8
        .value_kind:     hidden_global_offset_x
      - .offset:         192
        .size:           8
        .value_kind:     hidden_global_offset_y
      - .offset:         200
        .size:           8
        .value_kind:     hidden_global_offset_z
      - .offset:         208
        .size:           2
        .value_kind:     hidden_grid_dims
      - .offset:         264
        .size:           4
        .value_kind:     hidden_dynamic_lds_size
    .group_segment_fixed_size: 0
    .kernarg_segment_align: 8
    .kernarg_segment_size: 400
    .language:       OpenCL C
    .language_version:
      - 2
      - 0
    .max_flat_workgroup_size: 1024
    .name:           _ZN5aiter22opus_moe_sorting_entryINS_16MoeSortingKernelINS_19MoeSortingProblemExIifLi2ELb0ELb1ELb0ELb1ELi0EEEEENS4_5KargsEEEvT0_
    .private_segment_fixed_size: 0
    .sgpr_count:     50
    .sgpr_spill_count: 0
    .symbol:         _ZN5aiter22opus_moe_sorting_entryINS_16MoeSortingKernelINS_19MoeSortingProblemExIifLi2ELb0ELb1ELb0ELb1ELi0EEEEENS4_5KargsEEEvT0_.kd
    .uniform_work_group_size: 1
    .uses_dynamic_stack: false
    .vgpr_count:     26
    .vgpr_spill_count: 0
    .wavefront_size: 32
    .workgroup_processor_mode: 1
  - .args:
      - .offset:         0
        .size:           144
        .value_kind:     by_value
      - .offset:         144
        .size:           4
        .value_kind:     hidden_block_count_x
      - .offset:         148
        .size:           4
        .value_kind:     hidden_block_count_y
      - .offset:         152
        .size:           4
        .value_kind:     hidden_block_count_z
      - .offset:         156
        .size:           2
        .value_kind:     hidden_group_size_x
      - .offset:         158
        .size:           2
        .value_kind:     hidden_group_size_y
      - .offset:         160
        .size:           2
        .value_kind:     hidden_group_size_z
      - .offset:         162
        .size:           2
        .value_kind:     hidden_remainder_x
      - .offset:         164
        .size:           2
        .value_kind:     hidden_remainder_y
      - .offset:         166
        .size:           2
        .value_kind:     hidden_remainder_z
      - .offset:         184
        .size:           8
        .value_kind:     hidden_global_offset_x
      - .offset:         192
        .size:           8
        .value_kind:     hidden_global_offset_y
      - .offset:         200
        .size:           8
        .value_kind:     hidden_global_offset_z
      - .offset:         208
        .size:           2
        .value_kind:     hidden_grid_dims
      - .offset:         264
        .size:           4
        .value_kind:     hidden_dynamic_lds_size
    .group_segment_fixed_size: 0
    .kernarg_segment_align: 8
    .kernarg_segment_size: 400
    .language:       OpenCL C
    .language_version:
      - 2
      - 0
    .max_flat_workgroup_size: 1024
    .name:           _ZN5aiter22opus_moe_sorting_entryINS_16MoeSortingKernelINS_19MoeSortingProblemExIifLi1ELb0ELb1ELb0ELb1ELi0EEEEENS4_5KargsEEEvT0_
    .private_segment_fixed_size: 0
    .sgpr_count:     50
    .sgpr_spill_count: 0
    .symbol:         _ZN5aiter22opus_moe_sorting_entryINS_16MoeSortingKernelINS_19MoeSortingProblemExIifLi1ELb0ELb1ELb0ELb1ELi0EEEEENS4_5KargsEEEvT0_.kd
    .uniform_work_group_size: 1
    .uses_dynamic_stack: false
    .vgpr_count:     26
    .vgpr_spill_count: 0
    .wavefront_size: 32
    .workgroup_processor_mode: 1
  - .args:
      - .offset:         0
        .size:           144
        .value_kind:     by_value
      - .offset:         144
        .size:           4
        .value_kind:     hidden_block_count_x
      - .offset:         148
        .size:           4
        .value_kind:     hidden_block_count_y
      - .offset:         152
        .size:           4
        .value_kind:     hidden_block_count_z
      - .offset:         156
        .size:           2
        .value_kind:     hidden_group_size_x
      - .offset:         158
        .size:           2
        .value_kind:     hidden_group_size_y
      - .offset:         160
        .size:           2
        .value_kind:     hidden_group_size_z
      - .offset:         162
        .size:           2
        .value_kind:     hidden_remainder_x
      - .offset:         164
        .size:           2
        .value_kind:     hidden_remainder_y
      - .offset:         166
        .size:           2
        .value_kind:     hidden_remainder_z
      - .offset:         184
        .size:           8
        .value_kind:     hidden_global_offset_x
      - .offset:         192
        .size:           8
        .value_kind:     hidden_global_offset_y
      - .offset:         200
        .size:           8
        .value_kind:     hidden_global_offset_z
      - .offset:         208
        .size:           2
        .value_kind:     hidden_grid_dims
      - .offset:         264
        .size:           4
        .value_kind:     hidden_dynamic_lds_size
    .group_segment_fixed_size: 0
    .kernarg_segment_align: 8
    .kernarg_segment_size: 400
    .language:       OpenCL C
    .language_version:
      - 2
      - 0
    .max_flat_workgroup_size: 1024
    .name:           _ZN5aiter22opus_moe_sorting_entryINS_16MoeSortingKernelINS_19MoeSortingProblemExIifLi8ELb1ELb0ELb1ELb1ELi0EEEEENS4_5KargsEEEvT0_
    .private_segment_fixed_size: 0
    .sgpr_count:     46
    .sgpr_spill_count: 0
    .symbol:         _ZN5aiter22opus_moe_sorting_entryINS_16MoeSortingKernelINS_19MoeSortingProblemExIifLi8ELb1ELb0ELb1ELb1ELi0EEEEENS4_5KargsEEEvT0_.kd
    .uniform_work_group_size: 1
    .uses_dynamic_stack: false
    .vgpr_count:     29
    .vgpr_spill_count: 0
    .wavefront_size: 32
    .workgroup_processor_mode: 1
  - .args:
      - .offset:         0
        .size:           144
        .value_kind:     by_value
      - .offset:         144
        .size:           4
        .value_kind:     hidden_block_count_x
      - .offset:         148
        .size:           4
        .value_kind:     hidden_block_count_y
      - .offset:         152
        .size:           4
        .value_kind:     hidden_block_count_z
      - .offset:         156
        .size:           2
        .value_kind:     hidden_group_size_x
      - .offset:         158
        .size:           2
        .value_kind:     hidden_group_size_y
      - .offset:         160
        .size:           2
        .value_kind:     hidden_group_size_z
      - .offset:         162
        .size:           2
        .value_kind:     hidden_remainder_x
      - .offset:         164
        .size:           2
        .value_kind:     hidden_remainder_y
      - .offset:         166
        .size:           2
        .value_kind:     hidden_remainder_z
      - .offset:         184
        .size:           8
        .value_kind:     hidden_global_offset_x
      - .offset:         192
        .size:           8
        .value_kind:     hidden_global_offset_y
      - .offset:         200
        .size:           8
        .value_kind:     hidden_global_offset_z
      - .offset:         208
        .size:           2
        .value_kind:     hidden_grid_dims
      - .offset:         264
        .size:           4
        .value_kind:     hidden_dynamic_lds_size
    .group_segment_fixed_size: 0
    .kernarg_segment_align: 8
    .kernarg_segment_size: 400
    .language:       OpenCL C
    .language_version:
      - 2
      - 0
    .max_flat_workgroup_size: 1024
    .name:           _ZN5aiter22opus_moe_sorting_entryINS_16MoeSortingKernelINS_19MoeSortingProblemExIifLi4ELb1ELb0ELb1ELb1ELi0EEEEENS4_5KargsEEEvT0_
    .private_segment_fixed_size: 0
    .sgpr_count:     40
    .sgpr_spill_count: 0
    .symbol:         _ZN5aiter22opus_moe_sorting_entryINS_16MoeSortingKernelINS_19MoeSortingProblemExIifLi4ELb1ELb0ELb1ELb1ELi0EEEEENS4_5KargsEEEvT0_.kd
    .uniform_work_group_size: 1
    .uses_dynamic_stack: false
    .vgpr_count:     27
    .vgpr_spill_count: 0
    .wavefront_size: 32
    .workgroup_processor_mode: 1
  - .args:
      - .offset:         0
        .size:           144
        .value_kind:     by_value
      - .offset:         144
        .size:           4
        .value_kind:     hidden_block_count_x
      - .offset:         148
        .size:           4
        .value_kind:     hidden_block_count_y
      - .offset:         152
        .size:           4
        .value_kind:     hidden_block_count_z
      - .offset:         156
        .size:           2
        .value_kind:     hidden_group_size_x
      - .offset:         158
        .size:           2
        .value_kind:     hidden_group_size_y
      - .offset:         160
        .size:           2
        .value_kind:     hidden_group_size_z
      - .offset:         162
        .size:           2
        .value_kind:     hidden_remainder_x
      - .offset:         164
        .size:           2
        .value_kind:     hidden_remainder_y
      - .offset:         166
        .size:           2
        .value_kind:     hidden_remainder_z
      - .offset:         184
        .size:           8
        .value_kind:     hidden_global_offset_x
      - .offset:         192
        .size:           8
        .value_kind:     hidden_global_offset_y
      - .offset:         200
        .size:           8
        .value_kind:     hidden_global_offset_z
      - .offset:         208
        .size:           2
        .value_kind:     hidden_grid_dims
      - .offset:         264
        .size:           4
        .value_kind:     hidden_dynamic_lds_size
    .group_segment_fixed_size: 0
    .kernarg_segment_align: 8
    .kernarg_segment_size: 400
    .language:       OpenCL C
    .language_version:
      - 2
      - 0
    .max_flat_workgroup_size: 1024
    .name:           _ZN5aiter22opus_moe_sorting_entryINS_16MoeSortingKernelINS_19MoeSortingProblemExIifLi2ELb1ELb0ELb1ELb1ELi0EEEEENS4_5KargsEEEvT0_
    .private_segment_fixed_size: 0
    .sgpr_count:     40
    .sgpr_spill_count: 0
    .symbol:         _ZN5aiter22opus_moe_sorting_entryINS_16MoeSortingKernelINS_19MoeSortingProblemExIifLi2ELb1ELb0ELb1ELb1ELi0EEEEENS4_5KargsEEEvT0_.kd
    .uniform_work_group_size: 1
    .uses_dynamic_stack: false
    .vgpr_count:     20
    .vgpr_spill_count: 0
    .wavefront_size: 32
    .workgroup_processor_mode: 1
  - .args:
      - .offset:         0
        .size:           144
        .value_kind:     by_value
      - .offset:         144
        .size:           4
        .value_kind:     hidden_block_count_x
      - .offset:         148
        .size:           4
        .value_kind:     hidden_block_count_y
      - .offset:         152
        .size:           4
        .value_kind:     hidden_block_count_z
      - .offset:         156
        .size:           2
        .value_kind:     hidden_group_size_x
      - .offset:         158
        .size:           2
        .value_kind:     hidden_group_size_y
      - .offset:         160
        .size:           2
        .value_kind:     hidden_group_size_z
      - .offset:         162
        .size:           2
        .value_kind:     hidden_remainder_x
      - .offset:         164
        .size:           2
        .value_kind:     hidden_remainder_y
      - .offset:         166
        .size:           2
        .value_kind:     hidden_remainder_z
      - .offset:         184
        .size:           8
        .value_kind:     hidden_global_offset_x
      - .offset:         192
        .size:           8
        .value_kind:     hidden_global_offset_y
      - .offset:         200
        .size:           8
        .value_kind:     hidden_global_offset_z
      - .offset:         208
        .size:           2
        .value_kind:     hidden_grid_dims
      - .offset:         264
        .size:           4
        .value_kind:     hidden_dynamic_lds_size
    .group_segment_fixed_size: 0
    .kernarg_segment_align: 8
    .kernarg_segment_size: 400
    .language:       OpenCL C
    .language_version:
      - 2
      - 0
    .max_flat_workgroup_size: 1024
    .name:           _ZN5aiter22opus_moe_sorting_entryINS_16MoeSortingKernelINS_19MoeSortingProblemExIifLi1ELb1ELb0ELb1ELb1ELi0EEEEENS4_5KargsEEEvT0_
    .private_segment_fixed_size: 0
    .sgpr_count:     40
    .sgpr_spill_count: 0
    .symbol:         _ZN5aiter22opus_moe_sorting_entryINS_16MoeSortingKernelINS_19MoeSortingProblemExIifLi1ELb1ELb0ELb1ELb1ELi0EEEEENS4_5KargsEEEvT0_.kd
    .uniform_work_group_size: 1
    .uses_dynamic_stack: false
    .vgpr_count:     20
    .vgpr_spill_count: 0
    .wavefront_size: 32
    .workgroup_processor_mode: 1
  - .args:
      - .offset:         0
        .size:           144
        .value_kind:     by_value
      - .offset:         144
        .size:           4
        .value_kind:     hidden_block_count_x
      - .offset:         148
        .size:           4
        .value_kind:     hidden_block_count_y
      - .offset:         152
        .size:           4
        .value_kind:     hidden_block_count_z
      - .offset:         156
        .size:           2
        .value_kind:     hidden_group_size_x
      - .offset:         158
        .size:           2
        .value_kind:     hidden_group_size_y
      - .offset:         160
        .size:           2
        .value_kind:     hidden_group_size_z
      - .offset:         162
        .size:           2
        .value_kind:     hidden_remainder_x
      - .offset:         164
        .size:           2
        .value_kind:     hidden_remainder_y
      - .offset:         166
        .size:           2
        .value_kind:     hidden_remainder_z
      - .offset:         184
        .size:           8
        .value_kind:     hidden_global_offset_x
      - .offset:         192
        .size:           8
        .value_kind:     hidden_global_offset_y
      - .offset:         200
        .size:           8
        .value_kind:     hidden_global_offset_z
      - .offset:         208
        .size:           2
        .value_kind:     hidden_grid_dims
      - .offset:         264
        .size:           4
        .value_kind:     hidden_dynamic_lds_size
    .group_segment_fixed_size: 0
    .kernarg_segment_align: 8
    .kernarg_segment_size: 400
    .language:       OpenCL C
    .language_version:
      - 2
      - 0
    .max_flat_workgroup_size: 1024
    .name:           _ZN5aiter22opus_moe_sorting_entryINS_16MoeSortingKernelINS_19MoeSortingProblemExIifLi8ELb1ELb0ELb0ELb1ELi0EEEEENS4_5KargsEEEvT0_
    .private_segment_fixed_size: 0
    .sgpr_count:     46
    .sgpr_spill_count: 0
    .symbol:         _ZN5aiter22opus_moe_sorting_entryINS_16MoeSortingKernelINS_19MoeSortingProblemExIifLi8ELb1ELb0ELb0ELb1ELi0EEEEENS4_5KargsEEEvT0_.kd
    .uniform_work_group_size: 1
    .uses_dynamic_stack: false
    .vgpr_count:     29
    .vgpr_spill_count: 0
    .wavefront_size: 32
    .workgroup_processor_mode: 1
  - .args:
      - .offset:         0
        .size:           144
        .value_kind:     by_value
      - .offset:         144
        .size:           4
        .value_kind:     hidden_block_count_x
      - .offset:         148
        .size:           4
        .value_kind:     hidden_block_count_y
      - .offset:         152
        .size:           4
        .value_kind:     hidden_block_count_z
      - .offset:         156
        .size:           2
        .value_kind:     hidden_group_size_x
      - .offset:         158
        .size:           2
        .value_kind:     hidden_group_size_y
      - .offset:         160
        .size:           2
        .value_kind:     hidden_group_size_z
      - .offset:         162
        .size:           2
        .value_kind:     hidden_remainder_x
      - .offset:         164
        .size:           2
        .value_kind:     hidden_remainder_y
      - .offset:         166
        .size:           2
        .value_kind:     hidden_remainder_z
      - .offset:         184
        .size:           8
        .value_kind:     hidden_global_offset_x
      - .offset:         192
        .size:           8
        .value_kind:     hidden_global_offset_y
      - .offset:         200
        .size:           8
        .value_kind:     hidden_global_offset_z
      - .offset:         208
        .size:           2
        .value_kind:     hidden_grid_dims
      - .offset:         264
        .size:           4
        .value_kind:     hidden_dynamic_lds_size
    .group_segment_fixed_size: 0
    .kernarg_segment_align: 8
    .kernarg_segment_size: 400
    .language:       OpenCL C
    .language_version:
      - 2
      - 0
    .max_flat_workgroup_size: 1024
    .name:           _ZN5aiter22opus_moe_sorting_entryINS_16MoeSortingKernelINS_19MoeSortingProblemExIifLi4ELb1ELb0ELb0ELb1ELi0EEEEENS4_5KargsEEEvT0_
    .private_segment_fixed_size: 0
    .sgpr_count:     40
    .sgpr_spill_count: 0
    .symbol:         _ZN5aiter22opus_moe_sorting_entryINS_16MoeSortingKernelINS_19MoeSortingProblemExIifLi4ELb1ELb0ELb0ELb1ELi0EEEEENS4_5KargsEEEvT0_.kd
    .uniform_work_group_size: 1
    .uses_dynamic_stack: false
    .vgpr_count:     27
    .vgpr_spill_count: 0
    .wavefront_size: 32
    .workgroup_processor_mode: 1
  - .args:
      - .offset:         0
        .size:           144
        .value_kind:     by_value
      - .offset:         144
        .size:           4
        .value_kind:     hidden_block_count_x
      - .offset:         148
        .size:           4
        .value_kind:     hidden_block_count_y
      - .offset:         152
        .size:           4
        .value_kind:     hidden_block_count_z
      - .offset:         156
        .size:           2
        .value_kind:     hidden_group_size_x
      - .offset:         158
        .size:           2
        .value_kind:     hidden_group_size_y
      - .offset:         160
        .size:           2
        .value_kind:     hidden_group_size_z
      - .offset:         162
        .size:           2
        .value_kind:     hidden_remainder_x
      - .offset:         164
        .size:           2
        .value_kind:     hidden_remainder_y
      - .offset:         166
        .size:           2
        .value_kind:     hidden_remainder_z
      - .offset:         184
        .size:           8
        .value_kind:     hidden_global_offset_x
      - .offset:         192
        .size:           8
        .value_kind:     hidden_global_offset_y
      - .offset:         200
        .size:           8
        .value_kind:     hidden_global_offset_z
      - .offset:         208
        .size:           2
        .value_kind:     hidden_grid_dims
      - .offset:         264
        .size:           4
        .value_kind:     hidden_dynamic_lds_size
    .group_segment_fixed_size: 0
    .kernarg_segment_align: 8
    .kernarg_segment_size: 400
    .language:       OpenCL C
    .language_version:
      - 2
      - 0
    .max_flat_workgroup_size: 1024
    .name:           _ZN5aiter22opus_moe_sorting_entryINS_16MoeSortingKernelINS_19MoeSortingProblemExIifLi2ELb1ELb0ELb0ELb1ELi0EEEEENS4_5KargsEEEvT0_
    .private_segment_fixed_size: 0
    .sgpr_count:     40
    .sgpr_spill_count: 0
    .symbol:         _ZN5aiter22opus_moe_sorting_entryINS_16MoeSortingKernelINS_19MoeSortingProblemExIifLi2ELb1ELb0ELb0ELb1ELi0EEEEENS4_5KargsEEEvT0_.kd
    .uniform_work_group_size: 1
    .uses_dynamic_stack: false
    .vgpr_count:     20
    .vgpr_spill_count: 0
    .wavefront_size: 32
    .workgroup_processor_mode: 1
  - .args:
      - .offset:         0
        .size:           144
        .value_kind:     by_value
      - .offset:         144
        .size:           4
        .value_kind:     hidden_block_count_x
      - .offset:         148
        .size:           4
        .value_kind:     hidden_block_count_y
      - .offset:         152
        .size:           4
        .value_kind:     hidden_block_count_z
      - .offset:         156
        .size:           2
        .value_kind:     hidden_group_size_x
      - .offset:         158
        .size:           2
        .value_kind:     hidden_group_size_y
      - .offset:         160
        .size:           2
        .value_kind:     hidden_group_size_z
      - .offset:         162
        .size:           2
        .value_kind:     hidden_remainder_x
      - .offset:         164
        .size:           2
        .value_kind:     hidden_remainder_y
      - .offset:         166
        .size:           2
        .value_kind:     hidden_remainder_z
      - .offset:         184
        .size:           8
        .value_kind:     hidden_global_offset_x
      - .offset:         192
        .size:           8
        .value_kind:     hidden_global_offset_y
      - .offset:         200
        .size:           8
        .value_kind:     hidden_global_offset_z
      - .offset:         208
        .size:           2
        .value_kind:     hidden_grid_dims
      - .offset:         264
        .size:           4
        .value_kind:     hidden_dynamic_lds_size
    .group_segment_fixed_size: 0
    .kernarg_segment_align: 8
    .kernarg_segment_size: 400
    .language:       OpenCL C
    .language_version:
      - 2
      - 0
    .max_flat_workgroup_size: 1024
    .name:           _ZN5aiter22opus_moe_sorting_entryINS_16MoeSortingKernelINS_19MoeSortingProblemExIifLi1ELb1ELb0ELb0ELb1ELi0EEEEENS4_5KargsEEEvT0_
    .private_segment_fixed_size: 0
    .sgpr_count:     40
    .sgpr_spill_count: 0
    .symbol:         _ZN5aiter22opus_moe_sorting_entryINS_16MoeSortingKernelINS_19MoeSortingProblemExIifLi1ELb1ELb0ELb0ELb1ELi0EEEEENS4_5KargsEEEvT0_.kd
    .uniform_work_group_size: 1
    .uses_dynamic_stack: false
    .vgpr_count:     20
    .vgpr_spill_count: 0
    .wavefront_size: 32
    .workgroup_processor_mode: 1
  - .args:
      - .offset:         0
        .size:           144
        .value_kind:     by_value
      - .offset:         144
        .size:           4
        .value_kind:     hidden_block_count_x
      - .offset:         148
        .size:           4
        .value_kind:     hidden_block_count_y
      - .offset:         152
        .size:           4
        .value_kind:     hidden_block_count_z
      - .offset:         156
        .size:           2
        .value_kind:     hidden_group_size_x
      - .offset:         158
        .size:           2
        .value_kind:     hidden_group_size_y
      - .offset:         160
        .size:           2
        .value_kind:     hidden_group_size_z
      - .offset:         162
        .size:           2
        .value_kind:     hidden_remainder_x
      - .offset:         164
        .size:           2
        .value_kind:     hidden_remainder_y
      - .offset:         166
        .size:           2
        .value_kind:     hidden_remainder_z
      - .offset:         184
        .size:           8
        .value_kind:     hidden_global_offset_x
      - .offset:         192
        .size:           8
        .value_kind:     hidden_global_offset_y
      - .offset:         200
        .size:           8
        .value_kind:     hidden_global_offset_z
      - .offset:         208
        .size:           2
        .value_kind:     hidden_grid_dims
      - .offset:         264
        .size:           4
        .value_kind:     hidden_dynamic_lds_size
    .group_segment_fixed_size: 0
    .kernarg_segment_align: 8
    .kernarg_segment_size: 400
    .language:       OpenCL C
    .language_version:
      - 2
      - 0
    .max_flat_workgroup_size: 1024
    .name:           _ZN5aiter22opus_moe_sorting_entryINS_16MoeSortingKernelINS_19MoeSortingProblemExIifLi8ELb0ELb0ELb1ELb1ELi0EEEEENS4_5KargsEEEvT0_
    .private_segment_fixed_size: 0
    .sgpr_count:     47
    .sgpr_spill_count: 0
    .symbol:         _ZN5aiter22opus_moe_sorting_entryINS_16MoeSortingKernelINS_19MoeSortingProblemExIifLi8ELb0ELb0ELb1ELb1ELi0EEEEENS4_5KargsEEEvT0_.kd
    .uniform_work_group_size: 1
    .uses_dynamic_stack: false
    .vgpr_count:     30
    .vgpr_spill_count: 0
    .wavefront_size: 32
    .workgroup_processor_mode: 1
  - .args:
      - .offset:         0
        .size:           144
        .value_kind:     by_value
      - .offset:         144
        .size:           4
        .value_kind:     hidden_block_count_x
      - .offset:         148
        .size:           4
        .value_kind:     hidden_block_count_y
      - .offset:         152
        .size:           4
        .value_kind:     hidden_block_count_z
      - .offset:         156
        .size:           2
        .value_kind:     hidden_group_size_x
      - .offset:         158
        .size:           2
        .value_kind:     hidden_group_size_y
      - .offset:         160
        .size:           2
        .value_kind:     hidden_group_size_z
      - .offset:         162
        .size:           2
        .value_kind:     hidden_remainder_x
      - .offset:         164
        .size:           2
        .value_kind:     hidden_remainder_y
      - .offset:         166
        .size:           2
        .value_kind:     hidden_remainder_z
      - .offset:         184
        .size:           8
        .value_kind:     hidden_global_offset_x
      - .offset:         192
        .size:           8
        .value_kind:     hidden_global_offset_y
      - .offset:         200
        .size:           8
        .value_kind:     hidden_global_offset_z
      - .offset:         208
        .size:           2
        .value_kind:     hidden_grid_dims
      - .offset:         264
        .size:           4
        .value_kind:     hidden_dynamic_lds_size
    .group_segment_fixed_size: 0
    .kernarg_segment_align: 8
    .kernarg_segment_size: 400
    .language:       OpenCL C
    .language_version:
      - 2
      - 0
    .max_flat_workgroup_size: 1024
    .name:           _ZN5aiter22opus_moe_sorting_entryINS_16MoeSortingKernelINS_19MoeSortingProblemExIifLi4ELb0ELb0ELb1ELb1ELi0EEEEENS4_5KargsEEEvT0_
    .private_segment_fixed_size: 0
    .sgpr_count:     47
    .sgpr_spill_count: 0
    .symbol:         _ZN5aiter22opus_moe_sorting_entryINS_16MoeSortingKernelINS_19MoeSortingProblemExIifLi4ELb0ELb0ELb1ELb1ELi0EEEEENS4_5KargsEEEvT0_.kd
    .uniform_work_group_size: 1
    .uses_dynamic_stack: false
    .vgpr_count:     28
    .vgpr_spill_count: 0
    .wavefront_size: 32
    .workgroup_processor_mode: 1
  - .args:
      - .offset:         0
        .size:           144
        .value_kind:     by_value
      - .offset:         144
        .size:           4
        .value_kind:     hidden_block_count_x
      - .offset:         148
        .size:           4
        .value_kind:     hidden_block_count_y
      - .offset:         152
        .size:           4
        .value_kind:     hidden_block_count_z
      - .offset:         156
        .size:           2
        .value_kind:     hidden_group_size_x
      - .offset:         158
        .size:           2
        .value_kind:     hidden_group_size_y
      - .offset:         160
        .size:           2
        .value_kind:     hidden_group_size_z
      - .offset:         162
        .size:           2
        .value_kind:     hidden_remainder_x
      - .offset:         164
        .size:           2
        .value_kind:     hidden_remainder_y
      - .offset:         166
        .size:           2
        .value_kind:     hidden_remainder_z
      - .offset:         184
        .size:           8
        .value_kind:     hidden_global_offset_x
      - .offset:         192
        .size:           8
        .value_kind:     hidden_global_offset_y
      - .offset:         200
        .size:           8
        .value_kind:     hidden_global_offset_z
      - .offset:         208
        .size:           2
        .value_kind:     hidden_grid_dims
      - .offset:         264
        .size:           4
        .value_kind:     hidden_dynamic_lds_size
    .group_segment_fixed_size: 0
    .kernarg_segment_align: 8
    .kernarg_segment_size: 400
    .language:       OpenCL C
    .language_version:
      - 2
      - 0
    .max_flat_workgroup_size: 1024
    .name:           _ZN5aiter22opus_moe_sorting_entryINS_16MoeSortingKernelINS_19MoeSortingProblemExIifLi2ELb0ELb0ELb1ELb1ELi0EEEEENS4_5KargsEEEvT0_
    .private_segment_fixed_size: 0
    .sgpr_count:     47
    .sgpr_spill_count: 0
    .symbol:         _ZN5aiter22opus_moe_sorting_entryINS_16MoeSortingKernelINS_19MoeSortingProblemExIifLi2ELb0ELb0ELb1ELb1ELi0EEEEENS4_5KargsEEEvT0_.kd
    .uniform_work_group_size: 1
    .uses_dynamic_stack: false
    .vgpr_count:     26
    .vgpr_spill_count: 0
    .wavefront_size: 32
    .workgroup_processor_mode: 1
  - .args:
      - .offset:         0
        .size:           144
        .value_kind:     by_value
      - .offset:         144
        .size:           4
        .value_kind:     hidden_block_count_x
      - .offset:         148
        .size:           4
        .value_kind:     hidden_block_count_y
      - .offset:         152
        .size:           4
        .value_kind:     hidden_block_count_z
      - .offset:         156
        .size:           2
        .value_kind:     hidden_group_size_x
      - .offset:         158
        .size:           2
        .value_kind:     hidden_group_size_y
      - .offset:         160
        .size:           2
        .value_kind:     hidden_group_size_z
      - .offset:         162
        .size:           2
        .value_kind:     hidden_remainder_x
      - .offset:         164
        .size:           2
        .value_kind:     hidden_remainder_y
      - .offset:         166
        .size:           2
        .value_kind:     hidden_remainder_z
      - .offset:         184
        .size:           8
        .value_kind:     hidden_global_offset_x
      - .offset:         192
        .size:           8
        .value_kind:     hidden_global_offset_y
      - .offset:         200
        .size:           8
        .value_kind:     hidden_global_offset_z
      - .offset:         208
        .size:           2
        .value_kind:     hidden_grid_dims
      - .offset:         264
        .size:           4
        .value_kind:     hidden_dynamic_lds_size
    .group_segment_fixed_size: 0
    .kernarg_segment_align: 8
    .kernarg_segment_size: 400
    .language:       OpenCL C
    .language_version:
      - 2
      - 0
    .max_flat_workgroup_size: 1024
    .name:           _ZN5aiter22opus_moe_sorting_entryINS_16MoeSortingKernelINS_19MoeSortingProblemExIifLi1ELb0ELb0ELb1ELb1ELi0EEEEENS4_5KargsEEEvT0_
    .private_segment_fixed_size: 0
    .sgpr_count:     47
    .sgpr_spill_count: 0
    .symbol:         _ZN5aiter22opus_moe_sorting_entryINS_16MoeSortingKernelINS_19MoeSortingProblemExIifLi1ELb0ELb0ELb1ELb1ELi0EEEEENS4_5KargsEEEvT0_.kd
    .uniform_work_group_size: 1
    .uses_dynamic_stack: false
    .vgpr_count:     26
    .vgpr_spill_count: 0
    .wavefront_size: 32
    .workgroup_processor_mode: 1
  - .args:
      - .offset:         0
        .size:           144
        .value_kind:     by_value
      - .offset:         144
        .size:           4
        .value_kind:     hidden_block_count_x
      - .offset:         148
        .size:           4
        .value_kind:     hidden_block_count_y
      - .offset:         152
        .size:           4
        .value_kind:     hidden_block_count_z
      - .offset:         156
        .size:           2
        .value_kind:     hidden_group_size_x
      - .offset:         158
        .size:           2
        .value_kind:     hidden_group_size_y
      - .offset:         160
        .size:           2
        .value_kind:     hidden_group_size_z
      - .offset:         162
        .size:           2
        .value_kind:     hidden_remainder_x
      - .offset:         164
        .size:           2
        .value_kind:     hidden_remainder_y
      - .offset:         166
        .size:           2
        .value_kind:     hidden_remainder_z
      - .offset:         184
        .size:           8
        .value_kind:     hidden_global_offset_x
      - .offset:         192
        .size:           8
        .value_kind:     hidden_global_offset_y
      - .offset:         200
        .size:           8
        .value_kind:     hidden_global_offset_z
      - .offset:         208
        .size:           2
        .value_kind:     hidden_grid_dims
      - .offset:         264
        .size:           4
        .value_kind:     hidden_dynamic_lds_size
    .group_segment_fixed_size: 0
    .kernarg_segment_align: 8
    .kernarg_segment_size: 400
    .language:       OpenCL C
    .language_version:
      - 2
      - 0
    .max_flat_workgroup_size: 1024
    .name:           _ZN5aiter22opus_moe_sorting_entryINS_16MoeSortingKernelINS_19MoeSortingProblemExIifLi8ELb0ELb0ELb0ELb1ELi0EEEEENS4_5KargsEEEvT0_
    .private_segment_fixed_size: 0
    .sgpr_count:     47
    .sgpr_spill_count: 0
    .symbol:         _ZN5aiter22opus_moe_sorting_entryINS_16MoeSortingKernelINS_19MoeSortingProblemExIifLi8ELb0ELb0ELb0ELb1ELi0EEEEENS4_5KargsEEEvT0_.kd
    .uniform_work_group_size: 1
    .uses_dynamic_stack: false
    .vgpr_count:     30
    .vgpr_spill_count: 0
    .wavefront_size: 32
    .workgroup_processor_mode: 1
  - .args:
      - .offset:         0
        .size:           144
        .value_kind:     by_value
      - .offset:         144
        .size:           4
        .value_kind:     hidden_block_count_x
      - .offset:         148
        .size:           4
        .value_kind:     hidden_block_count_y
      - .offset:         152
        .size:           4
        .value_kind:     hidden_block_count_z
      - .offset:         156
        .size:           2
        .value_kind:     hidden_group_size_x
      - .offset:         158
        .size:           2
        .value_kind:     hidden_group_size_y
      - .offset:         160
        .size:           2
        .value_kind:     hidden_group_size_z
      - .offset:         162
        .size:           2
        .value_kind:     hidden_remainder_x
      - .offset:         164
        .size:           2
        .value_kind:     hidden_remainder_y
      - .offset:         166
        .size:           2
        .value_kind:     hidden_remainder_z
      - .offset:         184
        .size:           8
        .value_kind:     hidden_global_offset_x
      - .offset:         192
        .size:           8
        .value_kind:     hidden_global_offset_y
      - .offset:         200
        .size:           8
        .value_kind:     hidden_global_offset_z
      - .offset:         208
        .size:           2
        .value_kind:     hidden_grid_dims
      - .offset:         264
        .size:           4
        .value_kind:     hidden_dynamic_lds_size
    .group_segment_fixed_size: 0
    .kernarg_segment_align: 8
    .kernarg_segment_size: 400
    .language:       OpenCL C
    .language_version:
      - 2
      - 0
    .max_flat_workgroup_size: 1024
    .name:           _ZN5aiter22opus_moe_sorting_entryINS_16MoeSortingKernelINS_19MoeSortingProblemExIifLi4ELb0ELb0ELb0ELb1ELi0EEEEENS4_5KargsEEEvT0_
    .private_segment_fixed_size: 0
    .sgpr_count:     47
    .sgpr_spill_count: 0
    .symbol:         _ZN5aiter22opus_moe_sorting_entryINS_16MoeSortingKernelINS_19MoeSortingProblemExIifLi4ELb0ELb0ELb0ELb1ELi0EEEEENS4_5KargsEEEvT0_.kd
    .uniform_work_group_size: 1
    .uses_dynamic_stack: false
    .vgpr_count:     28
    .vgpr_spill_count: 0
    .wavefront_size: 32
    .workgroup_processor_mode: 1
  - .args:
      - .offset:         0
        .size:           144
        .value_kind:     by_value
      - .offset:         144
        .size:           4
        .value_kind:     hidden_block_count_x
      - .offset:         148
        .size:           4
        .value_kind:     hidden_block_count_y
      - .offset:         152
        .size:           4
        .value_kind:     hidden_block_count_z
      - .offset:         156
        .size:           2
        .value_kind:     hidden_group_size_x
      - .offset:         158
        .size:           2
        .value_kind:     hidden_group_size_y
      - .offset:         160
        .size:           2
        .value_kind:     hidden_group_size_z
      - .offset:         162
        .size:           2
        .value_kind:     hidden_remainder_x
      - .offset:         164
        .size:           2
        .value_kind:     hidden_remainder_y
      - .offset:         166
        .size:           2
        .value_kind:     hidden_remainder_z
      - .offset:         184
        .size:           8
        .value_kind:     hidden_global_offset_x
      - .offset:         192
        .size:           8
        .value_kind:     hidden_global_offset_y
      - .offset:         200
        .size:           8
        .value_kind:     hidden_global_offset_z
      - .offset:         208
        .size:           2
        .value_kind:     hidden_grid_dims
      - .offset:         264
        .size:           4
        .value_kind:     hidden_dynamic_lds_size
    .group_segment_fixed_size: 0
    .kernarg_segment_align: 8
    .kernarg_segment_size: 400
    .language:       OpenCL C
    .language_version:
      - 2
      - 0
    .max_flat_workgroup_size: 1024
    .name:           _ZN5aiter22opus_moe_sorting_entryINS_16MoeSortingKernelINS_19MoeSortingProblemExIifLi2ELb0ELb0ELb0ELb1ELi0EEEEENS4_5KargsEEEvT0_
    .private_segment_fixed_size: 0
    .sgpr_count:     47
    .sgpr_spill_count: 0
    .symbol:         _ZN5aiter22opus_moe_sorting_entryINS_16MoeSortingKernelINS_19MoeSortingProblemExIifLi2ELb0ELb0ELb0ELb1ELi0EEEEENS4_5KargsEEEvT0_.kd
    .uniform_work_group_size: 1
    .uses_dynamic_stack: false
    .vgpr_count:     26
    .vgpr_spill_count: 0
    .wavefront_size: 32
    .workgroup_processor_mode: 1
  - .args:
      - .offset:         0
        .size:           144
        .value_kind:     by_value
      - .offset:         144
        .size:           4
        .value_kind:     hidden_block_count_x
      - .offset:         148
        .size:           4
        .value_kind:     hidden_block_count_y
      - .offset:         152
        .size:           4
        .value_kind:     hidden_block_count_z
      - .offset:         156
        .size:           2
        .value_kind:     hidden_group_size_x
      - .offset:         158
        .size:           2
        .value_kind:     hidden_group_size_y
      - .offset:         160
        .size:           2
        .value_kind:     hidden_group_size_z
      - .offset:         162
        .size:           2
        .value_kind:     hidden_remainder_x
      - .offset:         164
        .size:           2
        .value_kind:     hidden_remainder_y
      - .offset:         166
        .size:           2
        .value_kind:     hidden_remainder_z
      - .offset:         184
        .size:           8
        .value_kind:     hidden_global_offset_x
      - .offset:         192
        .size:           8
        .value_kind:     hidden_global_offset_y
      - .offset:         200
        .size:           8
        .value_kind:     hidden_global_offset_z
      - .offset:         208
        .size:           2
        .value_kind:     hidden_grid_dims
      - .offset:         264
        .size:           4
        .value_kind:     hidden_dynamic_lds_size
    .group_segment_fixed_size: 0
    .kernarg_segment_align: 8
    .kernarg_segment_size: 400
    .language:       OpenCL C
    .language_version:
      - 2
      - 0
    .max_flat_workgroup_size: 1024
    .name:           _ZN5aiter22opus_moe_sorting_entryINS_16MoeSortingKernelINS_19MoeSortingProblemExIifLi1ELb0ELb0ELb0ELb1ELi0EEEEENS4_5KargsEEEvT0_
    .private_segment_fixed_size: 0
    .sgpr_count:     47
    .sgpr_spill_count: 0
    .symbol:         _ZN5aiter22opus_moe_sorting_entryINS_16MoeSortingKernelINS_19MoeSortingProblemExIifLi1ELb0ELb0ELb0ELb1ELi0EEEEENS4_5KargsEEEvT0_.kd
    .uniform_work_group_size: 1
    .uses_dynamic_stack: false
    .vgpr_count:     26
    .vgpr_spill_count: 0
    .wavefront_size: 32
    .workgroup_processor_mode: 1
  - .args:
      - .offset:         0
        .size:           32
        .value_kind:     by_value
      - .offset:         32
        .size:           4
        .value_kind:     hidden_block_count_x
      - .offset:         36
        .size:           4
        .value_kind:     hidden_block_count_y
      - .offset:         40
        .size:           4
        .value_kind:     hidden_block_count_z
      - .offset:         44
        .size:           2
        .value_kind:     hidden_group_size_x
      - .offset:         46
        .size:           2
        .value_kind:     hidden_group_size_y
      - .offset:         48
        .size:           2
        .value_kind:     hidden_group_size_z
      - .offset:         50
        .size:           2
        .value_kind:     hidden_remainder_x
      - .offset:         52
        .size:           2
        .value_kind:     hidden_remainder_y
      - .offset:         54
        .size:           2
        .value_kind:     hidden_remainder_z
      - .offset:         72
        .size:           8
        .value_kind:     hidden_global_offset_x
      - .offset:         80
        .size:           8
        .value_kind:     hidden_global_offset_y
      - .offset:         88
        .size:           8
        .value_kind:     hidden_global_offset_z
      - .offset:         96
        .size:           2
        .value_kind:     hidden_grid_dims
    .group_segment_fixed_size: 0
    .kernarg_segment_align: 8
    .kernarg_segment_size: 288
    .language:       OpenCL C
    .language_version:
      - 2
      - 0
    .max_flat_workgroup_size: 1024
    .name:           _ZN5aiter22opus_moe_sorting_entryINS_30MoeSortingClearWorkspaceKernelINS_31MoeSortingClearWorkspaceProblemILb1ELi1024ELi1EEEEENS4_5KargsEEEvT0_
    .private_segment_fixed_size: 0
    .sgpr_count:     18
    .sgpr_spill_count: 0
    .symbol:         _ZN5aiter22opus_moe_sorting_entryINS_30MoeSortingClearWorkspaceKernelINS_31MoeSortingClearWorkspaceProblemILb1ELi1024ELi1EEEEENS4_5KargsEEEvT0_.kd
    .uniform_work_group_size: 1
    .uses_dynamic_stack: false
    .vgpr_count:     7
    .vgpr_spill_count: 0
    .wavefront_size: 32
    .workgroup_processor_mode: 1
  - .args:
      - .offset:         0
        .size:           32
        .value_kind:     by_value
      - .offset:         32
        .size:           4
        .value_kind:     hidden_block_count_x
      - .offset:         36
        .size:           4
        .value_kind:     hidden_block_count_y
      - .offset:         40
        .size:           4
        .value_kind:     hidden_block_count_z
      - .offset:         44
        .size:           2
        .value_kind:     hidden_group_size_x
      - .offset:         46
        .size:           2
        .value_kind:     hidden_group_size_y
      - .offset:         48
        .size:           2
        .value_kind:     hidden_group_size_z
      - .offset:         50
        .size:           2
        .value_kind:     hidden_remainder_x
      - .offset:         52
        .size:           2
        .value_kind:     hidden_remainder_y
      - .offset:         54
        .size:           2
        .value_kind:     hidden_remainder_z
      - .offset:         72
        .size:           8
        .value_kind:     hidden_global_offset_x
      - .offset:         80
        .size:           8
        .value_kind:     hidden_global_offset_y
      - .offset:         88
        .size:           8
        .value_kind:     hidden_global_offset_z
      - .offset:         96
        .size:           2
        .value_kind:     hidden_grid_dims
    .group_segment_fixed_size: 0
    .kernarg_segment_align: 8
    .kernarg_segment_size: 288
    .language:       OpenCL C
    .language_version:
      - 2
      - 0
    .max_flat_workgroup_size: 1024
    .name:           _ZN5aiter22opus_moe_sorting_entryINS_30MoeSortingClearWorkspaceKernelINS_31MoeSortingClearWorkspaceProblemILb0ELi1024ELi1EEEEENS4_5KargsEEEvT0_
    .private_segment_fixed_size: 0
    .sgpr_count:     18
    .sgpr_spill_count: 0
    .symbol:         _ZN5aiter22opus_moe_sorting_entryINS_30MoeSortingClearWorkspaceKernelINS_31MoeSortingClearWorkspaceProblemILb0ELi1024ELi1EEEEENS4_5KargsEEEvT0_.kd
    .uniform_work_group_size: 1
    .uses_dynamic_stack: false
    .vgpr_count:     7
    .vgpr_spill_count: 0
    .wavefront_size: 32
    .workgroup_processor_mode: 1
  - .args:
      - .offset:         0
        .size:           72
        .value_kind:     by_value
    .group_segment_fixed_size: 64
    .kernarg_segment_align: 8
    .kernarg_segment_size: 72
    .language:       OpenCL C
    .language_version:
      - 2
      - 0
    .max_flat_workgroup_size: 1024
    .name:           _ZN5aiter22opus_moe_sorting_entryINS_32MoeSortingMultiPhaseKernel_P0_v2INS_19MoeSortingProblemMpIifhLi4ELb1ELb1ELb1EEEEENS4_5KargsEEEvT0_
    .private_segment_fixed_size: 0
    .sgpr_count:     31
    .sgpr_spill_count: 0
    .symbol:         _ZN5aiter22opus_moe_sorting_entryINS_32MoeSortingMultiPhaseKernel_P0_v2INS_19MoeSortingProblemMpIifhLi4ELb1ELb1ELb1EEEEENS4_5KargsEEEvT0_.kd
    .uniform_work_group_size: 1
    .uses_dynamic_stack: false
    .vgpr_count:     27
    .vgpr_spill_count: 0
    .wavefront_size: 32
    .workgroup_processor_mode: 1
  - .args:
      - .offset:         0
        .size:           144
        .value_kind:     by_value
      - .offset:         144
        .size:           4
        .value_kind:     hidden_block_count_x
      - .offset:         148
        .size:           4
        .value_kind:     hidden_block_count_y
      - .offset:         152
        .size:           4
        .value_kind:     hidden_block_count_z
      - .offset:         156
        .size:           2
        .value_kind:     hidden_group_size_x
      - .offset:         158
        .size:           2
        .value_kind:     hidden_group_size_y
      - .offset:         160
        .size:           2
        .value_kind:     hidden_group_size_z
      - .offset:         162
        .size:           2
        .value_kind:     hidden_remainder_x
      - .offset:         164
        .size:           2
        .value_kind:     hidden_remainder_y
      - .offset:         166
        .size:           2
        .value_kind:     hidden_remainder_z
      - .offset:         184
        .size:           8
        .value_kind:     hidden_global_offset_x
      - .offset:         192
        .size:           8
        .value_kind:     hidden_global_offset_y
      - .offset:         200
        .size:           8
        .value_kind:     hidden_global_offset_z
      - .offset:         208
        .size:           2
        .value_kind:     hidden_grid_dims
      - .offset:         264
        .size:           4
        .value_kind:     hidden_dynamic_lds_size
    .group_segment_fixed_size: 0
    .kernarg_segment_align: 8
    .kernarg_segment_size: 400
    .language:       OpenCL C
    .language_version:
      - 2
      - 0
    .max_flat_workgroup_size: 1024
    .name:           _ZN5aiter22opus_moe_sorting_entryINS_30MoeSortingMultiPhaseKernel_P23INS_19MoeSortingProblemMpIifhLi16ELb1ELb1ELb1EEEEENS4_5KargsEEEvT0_
    .private_segment_fixed_size: 0
    .sgpr_count:     62
    .sgpr_spill_count: 0
    .symbol:         _ZN5aiter22opus_moe_sorting_entryINS_30MoeSortingMultiPhaseKernel_P23INS_19MoeSortingProblemMpIifhLi16ELb1ELb1ELb1EEEEENS4_5KargsEEEvT0_.kd
    .uniform_work_group_size: 1
    .uses_dynamic_stack: false
    .vgpr_count:     64
    .vgpr_spill_count: 0
    .wavefront_size: 32
    .workgroup_processor_mode: 1
  - .args:
      - .offset:         0
        .size:           72
        .value_kind:     by_value
    .group_segment_fixed_size: 64
    .kernarg_segment_align: 8
    .kernarg_segment_size: 72
    .language:       OpenCL C
    .language_version:
      - 2
      - 0
    .max_flat_workgroup_size: 1024
    .name:           _ZN5aiter22opus_moe_sorting_entryINS_32MoeSortingMultiPhaseKernel_P0_v2INS_19MoeSortingProblemMpIifhLi4ELb1ELb0ELb1EEEEENS4_5KargsEEEvT0_
    .private_segment_fixed_size: 0
    .sgpr_count:     26
    .sgpr_spill_count: 0
    .symbol:         _ZN5aiter22opus_moe_sorting_entryINS_32MoeSortingMultiPhaseKernel_P0_v2INS_19MoeSortingProblemMpIifhLi4ELb1ELb0ELb1EEEEENS4_5KargsEEEvT0_.kd
    .uniform_work_group_size: 1
    .uses_dynamic_stack: false
    .vgpr_count:     26
    .vgpr_spill_count: 0
    .wavefront_size: 32
    .workgroup_processor_mode: 1
  - .args:
      - .offset:         0
        .size:           144
        .value_kind:     by_value
      - .offset:         144
        .size:           4
        .value_kind:     hidden_block_count_x
      - .offset:         148
        .size:           4
        .value_kind:     hidden_block_count_y
      - .offset:         152
        .size:           4
        .value_kind:     hidden_block_count_z
      - .offset:         156
        .size:           2
        .value_kind:     hidden_group_size_x
      - .offset:         158
        .size:           2
        .value_kind:     hidden_group_size_y
      - .offset:         160
        .size:           2
        .value_kind:     hidden_group_size_z
      - .offset:         162
        .size:           2
        .value_kind:     hidden_remainder_x
      - .offset:         164
        .size:           2
        .value_kind:     hidden_remainder_y
      - .offset:         166
        .size:           2
        .value_kind:     hidden_remainder_z
      - .offset:         184
        .size:           8
        .value_kind:     hidden_global_offset_x
      - .offset:         192
        .size:           8
        .value_kind:     hidden_global_offset_y
      - .offset:         200
        .size:           8
        .value_kind:     hidden_global_offset_z
      - .offset:         208
        .size:           2
        .value_kind:     hidden_grid_dims
      - .offset:         264
        .size:           4
        .value_kind:     hidden_dynamic_lds_size
    .group_segment_fixed_size: 0
    .kernarg_segment_align: 8
    .kernarg_segment_size: 400
    .language:       OpenCL C
    .language_version:
      - 2
      - 0
    .max_flat_workgroup_size: 1024
    .name:           _ZN5aiter22opus_moe_sorting_entryINS_30MoeSortingMultiPhaseKernel_P23INS_19MoeSortingProblemMpIifhLi16ELb1ELb0ELb1EEEEENS4_5KargsEEEvT0_
    .private_segment_fixed_size: 0
    .sgpr_count:     58
    .sgpr_spill_count: 0
    .symbol:         _ZN5aiter22opus_moe_sorting_entryINS_30MoeSortingMultiPhaseKernel_P23INS_19MoeSortingProblemMpIifhLi16ELb1ELb0ELb1EEEEENS4_5KargsEEEvT0_.kd
    .uniform_work_group_size: 1
    .uses_dynamic_stack: false
    .vgpr_count:     64
    .vgpr_spill_count: 0
    .wavefront_size: 32
    .workgroup_processor_mode: 1
  - .args:
      - .offset:         0
        .size:           72
        .value_kind:     by_value
    .group_segment_fixed_size: 64
    .kernarg_segment_align: 8
    .kernarg_segment_size: 72
    .language:       OpenCL C
    .language_version:
      - 2
      - 0
    .max_flat_workgroup_size: 1024
    .name:           _ZN5aiter22opus_moe_sorting_entryINS_32MoeSortingMultiPhaseKernel_P0_v2INS_19MoeSortingProblemMpIifhLi4ELb0ELb1ELb1EEEEENS4_5KargsEEEvT0_
    .private_segment_fixed_size: 0
    .sgpr_count:     28
    .sgpr_spill_count: 0
    .symbol:         _ZN5aiter22opus_moe_sorting_entryINS_32MoeSortingMultiPhaseKernel_P0_v2INS_19MoeSortingProblemMpIifhLi4ELb0ELb1ELb1EEEEENS4_5KargsEEEvT0_.kd
    .uniform_work_group_size: 1
    .uses_dynamic_stack: false
    .vgpr_count:     27
    .vgpr_spill_count: 0
    .wavefront_size: 32
    .workgroup_processor_mode: 1
  - .args:
      - .offset:         0
        .size:           144
        .value_kind:     by_value
      - .offset:         144
        .size:           4
        .value_kind:     hidden_block_count_x
      - .offset:         148
        .size:           4
        .value_kind:     hidden_block_count_y
      - .offset:         152
        .size:           4
        .value_kind:     hidden_block_count_z
      - .offset:         156
        .size:           2
        .value_kind:     hidden_group_size_x
      - .offset:         158
        .size:           2
        .value_kind:     hidden_group_size_y
      - .offset:         160
        .size:           2
        .value_kind:     hidden_group_size_z
      - .offset:         162
        .size:           2
        .value_kind:     hidden_remainder_x
      - .offset:         164
        .size:           2
        .value_kind:     hidden_remainder_y
      - .offset:         166
        .size:           2
        .value_kind:     hidden_remainder_z
      - .offset:         184
        .size:           8
        .value_kind:     hidden_global_offset_x
      - .offset:         192
        .size:           8
        .value_kind:     hidden_global_offset_y
      - .offset:         200
        .size:           8
        .value_kind:     hidden_global_offset_z
      - .offset:         208
        .size:           2
        .value_kind:     hidden_grid_dims
      - .offset:         264
        .size:           4
        .value_kind:     hidden_dynamic_lds_size
    .group_segment_fixed_size: 0
    .kernarg_segment_align: 8
    .kernarg_segment_size: 400
    .language:       OpenCL C
    .language_version:
      - 2
      - 0
    .max_flat_workgroup_size: 1024
    .name:           _ZN5aiter22opus_moe_sorting_entryINS_30MoeSortingMultiPhaseKernel_P23INS_19MoeSortingProblemMpIifhLi16ELb0ELb1ELb1EEEEENS4_5KargsEEEvT0_
    .private_segment_fixed_size: 0
    .sgpr_count:     46
    .sgpr_spill_count: 0
    .symbol:         _ZN5aiter22opus_moe_sorting_entryINS_30MoeSortingMultiPhaseKernel_P23INS_19MoeSortingProblemMpIifhLi16ELb0ELb1ELb1EEEEENS4_5KargsEEEvT0_.kd
    .uniform_work_group_size: 1
    .uses_dynamic_stack: false
    .vgpr_count:     64
    .vgpr_spill_count: 0
    .wavefront_size: 32
    .workgroup_processor_mode: 1
  - .args:
      - .offset:         0
        .size:           72
        .value_kind:     by_value
    .group_segment_fixed_size: 64
    .kernarg_segment_align: 8
    .kernarg_segment_size: 72
    .language:       OpenCL C
    .language_version:
      - 2
      - 0
    .max_flat_workgroup_size: 1024
    .name:           _ZN5aiter22opus_moe_sorting_entryINS_32MoeSortingMultiPhaseKernel_P0_v2INS_19MoeSortingProblemMpIifhLi4ELb0ELb0ELb1EEEEENS4_5KargsEEEvT0_
    .private_segment_fixed_size: 0
    .sgpr_count:     26
    .sgpr_spill_count: 0
    .symbol:         _ZN5aiter22opus_moe_sorting_entryINS_32MoeSortingMultiPhaseKernel_P0_v2INS_19MoeSortingProblemMpIifhLi4ELb0ELb0ELb1EEEEENS4_5KargsEEEvT0_.kd
    .uniform_work_group_size: 1
    .uses_dynamic_stack: false
    .vgpr_count:     26
    .vgpr_spill_count: 0
    .wavefront_size: 32
    .workgroup_processor_mode: 1
  - .args:
      - .offset:         0
        .size:           144
        .value_kind:     by_value
      - .offset:         144
        .size:           4
        .value_kind:     hidden_block_count_x
      - .offset:         148
        .size:           4
        .value_kind:     hidden_block_count_y
      - .offset:         152
        .size:           4
        .value_kind:     hidden_block_count_z
      - .offset:         156
        .size:           2
        .value_kind:     hidden_group_size_x
      - .offset:         158
        .size:           2
        .value_kind:     hidden_group_size_y
      - .offset:         160
        .size:           2
        .value_kind:     hidden_group_size_z
      - .offset:         162
        .size:           2
        .value_kind:     hidden_remainder_x
      - .offset:         164
        .size:           2
        .value_kind:     hidden_remainder_y
      - .offset:         166
        .size:           2
        .value_kind:     hidden_remainder_z
      - .offset:         184
        .size:           8
        .value_kind:     hidden_global_offset_x
      - .offset:         192
        .size:           8
        .value_kind:     hidden_global_offset_y
      - .offset:         200
        .size:           8
        .value_kind:     hidden_global_offset_z
      - .offset:         208
        .size:           2
        .value_kind:     hidden_grid_dims
      - .offset:         264
        .size:           4
        .value_kind:     hidden_dynamic_lds_size
    .group_segment_fixed_size: 0
    .kernarg_segment_align: 8
    .kernarg_segment_size: 400
    .language:       OpenCL C
    .language_version:
      - 2
      - 0
    .max_flat_workgroup_size: 1024
    .name:           _ZN5aiter22opus_moe_sorting_entryINS_30MoeSortingMultiPhaseKernel_P23INS_19MoeSortingProblemMpIifhLi16ELb0ELb0ELb1EEEEENS4_5KargsEEEvT0_
    .private_segment_fixed_size: 0
    .sgpr_count:     58
    .sgpr_spill_count: 0
    .symbol:         _ZN5aiter22opus_moe_sorting_entryINS_30MoeSortingMultiPhaseKernel_P23INS_19MoeSortingProblemMpIifhLi16ELb0ELb0ELb1EEEEENS4_5KargsEEEvT0_.kd
    .uniform_work_group_size: 1
    .uses_dynamic_stack: false
    .vgpr_count:     64
    .vgpr_spill_count: 0
    .wavefront_size: 32
    .workgroup_processor_mode: 1
  - .args:
      - .offset:         0
        .size:           72
        .value_kind:     by_value
    .group_segment_fixed_size: 64
    .kernarg_segment_align: 8
    .kernarg_segment_size: 72
    .language:       OpenCL C
    .language_version:
      - 2
      - 0
    .max_flat_workgroup_size: 1024
    .name:           _ZN5aiter22opus_moe_sorting_entryINS_32MoeSortingMultiPhaseKernel_P0_v2INS_19MoeSortingProblemMpIifhLi1ELb1ELb1ELb1EEEEENS4_5KargsEEEvT0_
    .private_segment_fixed_size: 0
    .sgpr_count:     22
    .sgpr_spill_count: 0
    .symbol:         _ZN5aiter22opus_moe_sorting_entryINS_32MoeSortingMultiPhaseKernel_P0_v2INS_19MoeSortingProblemMpIifhLi1ELb1ELb1ELb1EEEEENS4_5KargsEEEvT0_.kd
    .uniform_work_group_size: 1
    .uses_dynamic_stack: false
    .vgpr_count:     25
    .vgpr_spill_count: 0
    .wavefront_size: 32
    .workgroup_processor_mode: 1
  - .args:
      - .offset:         0
        .size:           72
        .value_kind:     by_value
    .group_segment_fixed_size: 64
    .kernarg_segment_align: 8
    .kernarg_segment_size: 72
    .language:       OpenCL C
    .language_version:
      - 2
      - 0
    .max_flat_workgroup_size: 1024
    .name:           _ZN5aiter22opus_moe_sorting_entryINS_32MoeSortingMultiPhaseKernel_P0_v2INS_19MoeSortingProblemMpIifhLi1ELb1ELb0ELb1EEEEENS4_5KargsEEEvT0_
    .private_segment_fixed_size: 0
    .sgpr_count:     18
    .sgpr_spill_count: 0
    .symbol:         _ZN5aiter22opus_moe_sorting_entryINS_32MoeSortingMultiPhaseKernel_P0_v2INS_19MoeSortingProblemMpIifhLi1ELb1ELb0ELb1EEEEENS4_5KargsEEEvT0_.kd
    .uniform_work_group_size: 1
    .uses_dynamic_stack: false
    .vgpr_count:     25
    .vgpr_spill_count: 0
    .wavefront_size: 32
    .workgroup_processor_mode: 1
  - .args:
      - .offset:         0
        .size:           72
        .value_kind:     by_value
    .group_segment_fixed_size: 64
    .kernarg_segment_align: 8
    .kernarg_segment_size: 72
    .language:       OpenCL C
    .language_version:
      - 2
      - 0
    .max_flat_workgroup_size: 1024
    .name:           _ZN5aiter22opus_moe_sorting_entryINS_32MoeSortingMultiPhaseKernel_P0_v2INS_19MoeSortingProblemMpIifhLi1ELb0ELb1ELb1EEEEENS4_5KargsEEEvT0_
    .private_segment_fixed_size: 0
    .sgpr_count:     18
    .sgpr_spill_count: 0
    .symbol:         _ZN5aiter22opus_moe_sorting_entryINS_32MoeSortingMultiPhaseKernel_P0_v2INS_19MoeSortingProblemMpIifhLi1ELb0ELb1ELb1EEEEENS4_5KargsEEEvT0_.kd
    .uniform_work_group_size: 1
    .uses_dynamic_stack: false
    .vgpr_count:     25
    .vgpr_spill_count: 0
    .wavefront_size: 32
    .workgroup_processor_mode: 1
  - .args:
      - .offset:         0
        .size:           72
        .value_kind:     by_value
    .group_segment_fixed_size: 64
    .kernarg_segment_align: 8
    .kernarg_segment_size: 72
    .language:       OpenCL C
    .language_version:
      - 2
      - 0
    .max_flat_workgroup_size: 1024
    .name:           _ZN5aiter22opus_moe_sorting_entryINS_32MoeSortingMultiPhaseKernel_P0_v2INS_19MoeSortingProblemMpIifhLi1ELb0ELb0ELb1EEEEENS4_5KargsEEEvT0_
    .private_segment_fixed_size: 0
    .sgpr_count:     18
    .sgpr_spill_count: 0
    .symbol:         _ZN5aiter22opus_moe_sorting_entryINS_32MoeSortingMultiPhaseKernel_P0_v2INS_19MoeSortingProblemMpIifhLi1ELb0ELb0ELb1EEEEENS4_5KargsEEEvT0_.kd
    .uniform_work_group_size: 1
    .uses_dynamic_stack: false
    .vgpr_count:     25
    .vgpr_spill_count: 0
    .wavefront_size: 32
    .workgroup_processor_mode: 1
  - .args:
      - .offset:         0
        .size:           72
        .value_kind:     by_value
    .group_segment_fixed_size: 64
    .kernarg_segment_align: 8
    .kernarg_segment_size: 72
    .language:       OpenCL C
    .language_version:
      - 2
      - 0
    .max_flat_workgroup_size: 1024
    .name:           _ZN5aiter22opus_moe_sorting_entryINS_32MoeSortingMultiPhaseKernel_P0_v2INS_19MoeSortingProblemMpIifiLi1ELb1ELb1ELb1EEEEENS4_5KargsEEEvT0_
    .private_segment_fixed_size: 0
    .sgpr_count:     25
    .sgpr_spill_count: 0
    .symbol:         _ZN5aiter22opus_moe_sorting_entryINS_32MoeSortingMultiPhaseKernel_P0_v2INS_19MoeSortingProblemMpIifiLi1ELb1ELb1ELb1EEEEENS4_5KargsEEEvT0_.kd
    .uniform_work_group_size: 1
    .uses_dynamic_stack: false
    .vgpr_count:     12
    .vgpr_spill_count: 0
    .wavefront_size: 32
    .workgroup_processor_mode: 1
  - .args:
      - .offset:         0
        .size:           144
        .value_kind:     by_value
      - .offset:         144
        .size:           4
        .value_kind:     hidden_block_count_x
      - .offset:         148
        .size:           4
        .value_kind:     hidden_block_count_y
      - .offset:         152
        .size:           4
        .value_kind:     hidden_block_count_z
      - .offset:         156
        .size:           2
        .value_kind:     hidden_group_size_x
      - .offset:         158
        .size:           2
        .value_kind:     hidden_group_size_y
      - .offset:         160
        .size:           2
        .value_kind:     hidden_group_size_z
      - .offset:         162
        .size:           2
        .value_kind:     hidden_remainder_x
      - .offset:         164
        .size:           2
        .value_kind:     hidden_remainder_y
      - .offset:         166
        .size:           2
        .value_kind:     hidden_remainder_z
      - .offset:         184
        .size:           8
        .value_kind:     hidden_global_offset_x
      - .offset:         192
        .size:           8
        .value_kind:     hidden_global_offset_y
      - .offset:         200
        .size:           8
        .value_kind:     hidden_global_offset_z
      - .offset:         208
        .size:           2
        .value_kind:     hidden_grid_dims
      - .offset:         264
        .size:           4
        .value_kind:     hidden_dynamic_lds_size
    .group_segment_fixed_size: 0
    .kernarg_segment_align: 8
    .kernarg_segment_size: 400
    .language:       OpenCL C
    .language_version:
      - 2
      - 0
    .max_flat_workgroup_size: 1024
    .name:           _ZN5aiter22opus_moe_sorting_entryINS_30MoeSortingMultiPhaseKernel_P23INS_19MoeSortingProblemMpIifiLi1ELb1ELb1ELb1EEEEENS4_5KargsEEEvT0_
    .private_segment_fixed_size: 0
    .sgpr_count:     50
    .sgpr_spill_count: 0
    .symbol:         _ZN5aiter22opus_moe_sorting_entryINS_30MoeSortingMultiPhaseKernel_P23INS_19MoeSortingProblemMpIifiLi1ELb1ELb1ELb1EEEEENS4_5KargsEEEvT0_.kd
    .uniform_work_group_size: 1
    .uses_dynamic_stack: false
    .vgpr_count:     35
    .vgpr_spill_count: 0
    .wavefront_size: 32
    .workgroup_processor_mode: 1
  - .args:
      - .offset:         0
        .size:           72
        .value_kind:     by_value
    .group_segment_fixed_size: 64
    .kernarg_segment_align: 8
    .kernarg_segment_size: 72
    .language:       OpenCL C
    .language_version:
      - 2
      - 0
    .max_flat_workgroup_size: 1024
    .name:           _ZN5aiter22opus_moe_sorting_entryINS_32MoeSortingMultiPhaseKernel_P0_v2INS_19MoeSortingProblemMpIifiLi1ELb1ELb0ELb1EEEEENS4_5KargsEEEvT0_
    .private_segment_fixed_size: 0
    .sgpr_count:     22
    .sgpr_spill_count: 0
    .symbol:         _ZN5aiter22opus_moe_sorting_entryINS_32MoeSortingMultiPhaseKernel_P0_v2INS_19MoeSortingProblemMpIifiLi1ELb1ELb0ELb1EEEEENS4_5KargsEEEvT0_.kd
    .uniform_work_group_size: 1
    .uses_dynamic_stack: false
    .vgpr_count:     12
    .vgpr_spill_count: 0
    .wavefront_size: 32
    .workgroup_processor_mode: 1
  - .args:
      - .offset:         0
        .size:           144
        .value_kind:     by_value
      - .offset:         144
        .size:           4
        .value_kind:     hidden_block_count_x
      - .offset:         148
        .size:           4
        .value_kind:     hidden_block_count_y
      - .offset:         152
        .size:           4
        .value_kind:     hidden_block_count_z
      - .offset:         156
        .size:           2
        .value_kind:     hidden_group_size_x
      - .offset:         158
        .size:           2
        .value_kind:     hidden_group_size_y
      - .offset:         160
        .size:           2
        .value_kind:     hidden_group_size_z
      - .offset:         162
        .size:           2
        .value_kind:     hidden_remainder_x
      - .offset:         164
        .size:           2
        .value_kind:     hidden_remainder_y
      - .offset:         166
        .size:           2
        .value_kind:     hidden_remainder_z
      - .offset:         184
        .size:           8
        .value_kind:     hidden_global_offset_x
      - .offset:         192
        .size:           8
        .value_kind:     hidden_global_offset_y
      - .offset:         200
        .size:           8
        .value_kind:     hidden_global_offset_z
      - .offset:         208
        .size:           2
        .value_kind:     hidden_grid_dims
      - .offset:         264
        .size:           4
        .value_kind:     hidden_dynamic_lds_size
    .group_segment_fixed_size: 0
    .kernarg_segment_align: 8
    .kernarg_segment_size: 400
    .language:       OpenCL C
    .language_version:
      - 2
      - 0
    .max_flat_workgroup_size: 1024
    .name:           _ZN5aiter22opus_moe_sorting_entryINS_30MoeSortingMultiPhaseKernel_P23INS_19MoeSortingProblemMpIifiLi1ELb1ELb0ELb1EEEEENS4_5KargsEEEvT0_
    .private_segment_fixed_size: 0
    .sgpr_count:     51
    .sgpr_spill_count: 0
    .symbol:         _ZN5aiter22opus_moe_sorting_entryINS_30MoeSortingMultiPhaseKernel_P23INS_19MoeSortingProblemMpIifiLi1ELb1ELb0ELb1EEEEENS4_5KargsEEEvT0_.kd
    .uniform_work_group_size: 1
    .uses_dynamic_stack: false
    .vgpr_count:     35
    .vgpr_spill_count: 0
    .wavefront_size: 32
    .workgroup_processor_mode: 1
  - .args:
      - .offset:         0
        .size:           72
        .value_kind:     by_value
    .group_segment_fixed_size: 64
    .kernarg_segment_align: 8
    .kernarg_segment_size: 72
    .language:       OpenCL C
    .language_version:
      - 2
      - 0
    .max_flat_workgroup_size: 1024
    .name:           _ZN5aiter22opus_moe_sorting_entryINS_32MoeSortingMultiPhaseKernel_P0_v2INS_19MoeSortingProblemMpIifiLi1ELb0ELb1ELb1EEEEENS4_5KargsEEEvT0_
    .private_segment_fixed_size: 0
    .sgpr_count:     22
    .sgpr_spill_count: 0
    .symbol:         _ZN5aiter22opus_moe_sorting_entryINS_32MoeSortingMultiPhaseKernel_P0_v2INS_19MoeSortingProblemMpIifiLi1ELb0ELb1ELb1EEEEENS4_5KargsEEEvT0_.kd
    .uniform_work_group_size: 1
    .uses_dynamic_stack: false
    .vgpr_count:     12
    .vgpr_spill_count: 0
    .wavefront_size: 32
    .workgroup_processor_mode: 1
  - .args:
      - .offset:         0
        .size:           144
        .value_kind:     by_value
      - .offset:         144
        .size:           4
        .value_kind:     hidden_block_count_x
      - .offset:         148
        .size:           4
        .value_kind:     hidden_block_count_y
      - .offset:         152
        .size:           4
        .value_kind:     hidden_block_count_z
      - .offset:         156
        .size:           2
        .value_kind:     hidden_group_size_x
      - .offset:         158
        .size:           2
        .value_kind:     hidden_group_size_y
      - .offset:         160
        .size:           2
        .value_kind:     hidden_group_size_z
      - .offset:         162
        .size:           2
        .value_kind:     hidden_remainder_x
      - .offset:         164
        .size:           2
        .value_kind:     hidden_remainder_y
      - .offset:         166
        .size:           2
        .value_kind:     hidden_remainder_z
      - .offset:         184
        .size:           8
        .value_kind:     hidden_global_offset_x
      - .offset:         192
        .size:           8
        .value_kind:     hidden_global_offset_y
      - .offset:         200
        .size:           8
        .value_kind:     hidden_global_offset_z
      - .offset:         208
        .size:           2
        .value_kind:     hidden_grid_dims
      - .offset:         264
        .size:           4
        .value_kind:     hidden_dynamic_lds_size
    .group_segment_fixed_size: 0
    .kernarg_segment_align: 8
    .kernarg_segment_size: 400
    .language:       OpenCL C
    .language_version:
      - 2
      - 0
    .max_flat_workgroup_size: 1024
    .name:           _ZN5aiter22opus_moe_sorting_entryINS_30MoeSortingMultiPhaseKernel_P23INS_19MoeSortingProblemMpIifiLi1ELb0ELb1ELb1EEEEENS4_5KargsEEEvT0_
    .private_segment_fixed_size: 0
    .sgpr_count:     46
    .sgpr_spill_count: 0
    .symbol:         _ZN5aiter22opus_moe_sorting_entryINS_30MoeSortingMultiPhaseKernel_P23INS_19MoeSortingProblemMpIifiLi1ELb0ELb1ELb1EEEEENS4_5KargsEEEvT0_.kd
    .uniform_work_group_size: 1
    .uses_dynamic_stack: false
    .vgpr_count:     32
    .vgpr_spill_count: 0
    .wavefront_size: 32
    .workgroup_processor_mode: 1
  - .args:
      - .offset:         0
        .size:           72
        .value_kind:     by_value
    .group_segment_fixed_size: 64
    .kernarg_segment_align: 8
    .kernarg_segment_size: 72
    .language:       OpenCL C
    .language_version:
      - 2
      - 0
    .max_flat_workgroup_size: 1024
    .name:           _ZN5aiter22opus_moe_sorting_entryINS_32MoeSortingMultiPhaseKernel_P0_v2INS_19MoeSortingProblemMpIifiLi1ELb0ELb0ELb1EEEEENS4_5KargsEEEvT0_
    .private_segment_fixed_size: 0
    .sgpr_count:     22
    .sgpr_spill_count: 0
    .symbol:         _ZN5aiter22opus_moe_sorting_entryINS_32MoeSortingMultiPhaseKernel_P0_v2INS_19MoeSortingProblemMpIifiLi1ELb0ELb0ELb1EEEEENS4_5KargsEEEvT0_.kd
    .uniform_work_group_size: 1
    .uses_dynamic_stack: false
    .vgpr_count:     12
    .vgpr_spill_count: 0
    .wavefront_size: 32
    .workgroup_processor_mode: 1
  - .args:
      - .offset:         0
        .size:           144
        .value_kind:     by_value
      - .offset:         144
        .size:           4
        .value_kind:     hidden_block_count_x
      - .offset:         148
        .size:           4
        .value_kind:     hidden_block_count_y
      - .offset:         152
        .size:           4
        .value_kind:     hidden_block_count_z
      - .offset:         156
        .size:           2
        .value_kind:     hidden_group_size_x
      - .offset:         158
        .size:           2
        .value_kind:     hidden_group_size_y
      - .offset:         160
        .size:           2
        .value_kind:     hidden_group_size_z
      - .offset:         162
        .size:           2
        .value_kind:     hidden_remainder_x
      - .offset:         164
        .size:           2
        .value_kind:     hidden_remainder_y
      - .offset:         166
        .size:           2
        .value_kind:     hidden_remainder_z
      - .offset:         184
        .size:           8
        .value_kind:     hidden_global_offset_x
      - .offset:         192
        .size:           8
        .value_kind:     hidden_global_offset_y
      - .offset:         200
        .size:           8
        .value_kind:     hidden_global_offset_z
      - .offset:         208
        .size:           2
        .value_kind:     hidden_grid_dims
      - .offset:         264
        .size:           4
        .value_kind:     hidden_dynamic_lds_size
    .group_segment_fixed_size: 0
    .kernarg_segment_align: 8
    .kernarg_segment_size: 400
    .language:       OpenCL C
    .language_version:
      - 2
      - 0
    .max_flat_workgroup_size: 1024
    .name:           _ZN5aiter22opus_moe_sorting_entryINS_30MoeSortingMultiPhaseKernel_P23INS_19MoeSortingProblemMpIifiLi1ELb0ELb0ELb1EEEEENS4_5KargsEEEvT0_
    .private_segment_fixed_size: 0
    .sgpr_count:     50
    .sgpr_spill_count: 0
    .symbol:         _ZN5aiter22opus_moe_sorting_entryINS_30MoeSortingMultiPhaseKernel_P23INS_19MoeSortingProblemMpIifiLi1ELb0ELb0ELb1EEEEENS4_5KargsEEEvT0_.kd
    .uniform_work_group_size: 1
    .uses_dynamic_stack: false
    .vgpr_count:     32
    .vgpr_spill_count: 0
    .wavefront_size: 32
    .workgroup_processor_mode: 1
  - .args:
      - .offset:         0
        .size:           48
        .value_kind:     by_value
      - .offset:         48
        .size:           4
        .value_kind:     hidden_block_count_x
      - .offset:         52
        .size:           4
        .value_kind:     hidden_block_count_y
      - .offset:         56
        .size:           4
        .value_kind:     hidden_block_count_z
      - .offset:         60
        .size:           2
        .value_kind:     hidden_group_size_x
      - .offset:         62
        .size:           2
        .value_kind:     hidden_group_size_y
      - .offset:         64
        .size:           2
        .value_kind:     hidden_group_size_z
      - .offset:         66
        .size:           2
        .value_kind:     hidden_remainder_x
      - .offset:         68
        .size:           2
        .value_kind:     hidden_remainder_y
      - .offset:         70
        .size:           2
        .value_kind:     hidden_remainder_z
      - .offset:         88
        .size:           8
        .value_kind:     hidden_global_offset_x
      - .offset:         96
        .size:           8
        .value_kind:     hidden_global_offset_y
      - .offset:         104
        .size:           8
        .value_kind:     hidden_global_offset_z
      - .offset:         112
        .size:           2
        .value_kind:     hidden_grid_dims
    .group_segment_fixed_size: 0
    .kernarg_segment_align: 8
    .kernarg_segment_size: 304
    .language:       OpenCL C
    .language_version:
      - 2
      - 0
    .max_flat_workgroup_size: 1024
    .name:           _ZN5aiter22opus_moe_sorting_entryINS_32MoeSortingMultiPhaseKernel_P0_v1INS_19MoeSortingProblemMpIifhLi4ELb1ELb1ELb1EEEEENS4_5KargsEEEvT0_
    .private_segment_fixed_size: 0
    .sgpr_count:     38
    .sgpr_spill_count: 0
    .symbol:         _ZN5aiter22opus_moe_sorting_entryINS_32MoeSortingMultiPhaseKernel_P0_v1INS_19MoeSortingProblemMpIifhLi4ELb1ELb1ELb1EEEEENS4_5KargsEEEvT0_.kd
    .uniform_work_group_size: 1
    .uses_dynamic_stack: false
    .vgpr_count:     34
    .vgpr_spill_count: 0
    .wavefront_size: 32
    .workgroup_processor_mode: 1
  - .args:
      - .offset:         0
        .size:           40
        .value_kind:     by_value
    .group_segment_fixed_size: 32
    .kernarg_segment_align: 8
    .kernarg_segment_size: 40
    .language:       OpenCL C
    .language_version:
      - 2
      - 0
    .max_flat_workgroup_size: 1024
    .name:           _ZN5aiter22opus_moe_sorting_entryINS_29MoeSortingMultiPhaseKernel_P1INS_19MoeSortingProblemMpIifhLi16ELb1ELb1ELb1EEEEENS4_5KargsEEEvT0_
    .private_segment_fixed_size: 0
    .sgpr_count:     18
    .sgpr_spill_count: 0
    .symbol:         _ZN5aiter22opus_moe_sorting_entryINS_29MoeSortingMultiPhaseKernel_P1INS_19MoeSortingProblemMpIifhLi16ELb1ELb1ELb1EEEEENS4_5KargsEEEvT0_.kd
    .uniform_work_group_size: 1
    .uses_dynamic_stack: false
    .vgpr_count:     20
    .vgpr_spill_count: 0
    .wavefront_size: 32
    .workgroup_processor_mode: 1
  - .args:
      - .offset:         0
        .size:           48
        .value_kind:     by_value
      - .offset:         48
        .size:           4
        .value_kind:     hidden_block_count_x
      - .offset:         52
        .size:           4
        .value_kind:     hidden_block_count_y
      - .offset:         56
        .size:           4
        .value_kind:     hidden_block_count_z
      - .offset:         60
        .size:           2
        .value_kind:     hidden_group_size_x
      - .offset:         62
        .size:           2
        .value_kind:     hidden_group_size_y
      - .offset:         64
        .size:           2
        .value_kind:     hidden_group_size_z
      - .offset:         66
        .size:           2
        .value_kind:     hidden_remainder_x
      - .offset:         68
        .size:           2
        .value_kind:     hidden_remainder_y
      - .offset:         70
        .size:           2
        .value_kind:     hidden_remainder_z
      - .offset:         88
        .size:           8
        .value_kind:     hidden_global_offset_x
      - .offset:         96
        .size:           8
        .value_kind:     hidden_global_offset_y
      - .offset:         104
        .size:           8
        .value_kind:     hidden_global_offset_z
      - .offset:         112
        .size:           2
        .value_kind:     hidden_grid_dims
    .group_segment_fixed_size: 0
    .kernarg_segment_align: 8
    .kernarg_segment_size: 304
    .language:       OpenCL C
    .language_version:
      - 2
      - 0
    .max_flat_workgroup_size: 1024
    .name:           _ZN5aiter22opus_moe_sorting_entryINS_32MoeSortingMultiPhaseKernel_P0_v1INS_19MoeSortingProblemMpIifhLi4ELb1ELb0ELb1EEEEENS4_5KargsEEEvT0_
    .private_segment_fixed_size: 0
    .sgpr_count:     36
    .sgpr_spill_count: 0
    .symbol:         _ZN5aiter22opus_moe_sorting_entryINS_32MoeSortingMultiPhaseKernel_P0_v1INS_19MoeSortingProblemMpIifhLi4ELb1ELb0ELb1EEEEENS4_5KargsEEEvT0_.kd
    .uniform_work_group_size: 1
    .uses_dynamic_stack: false
    .vgpr_count:     33
    .vgpr_spill_count: 0
    .wavefront_size: 32
    .workgroup_processor_mode: 1
  - .args:
      - .offset:         0
        .size:           40
        .value_kind:     by_value
    .group_segment_fixed_size: 32
    .kernarg_segment_align: 8
    .kernarg_segment_size: 40
    .language:       OpenCL C
    .language_version:
      - 2
      - 0
    .max_flat_workgroup_size: 1024
    .name:           _ZN5aiter22opus_moe_sorting_entryINS_29MoeSortingMultiPhaseKernel_P1INS_19MoeSortingProblemMpIifhLi16ELb1ELb0ELb1EEEEENS4_5KargsEEEvT0_
    .private_segment_fixed_size: 0
    .sgpr_count:     18
    .sgpr_spill_count: 0
    .symbol:         _ZN5aiter22opus_moe_sorting_entryINS_29MoeSortingMultiPhaseKernel_P1INS_19MoeSortingProblemMpIifhLi16ELb1ELb0ELb1EEEEENS4_5KargsEEEvT0_.kd
    .uniform_work_group_size: 1
    .uses_dynamic_stack: false
    .vgpr_count:     20
    .vgpr_spill_count: 0
    .wavefront_size: 32
    .workgroup_processor_mode: 1
  - .args:
      - .offset:         0
        .size:           48
        .value_kind:     by_value
      - .offset:         48
        .size:           4
        .value_kind:     hidden_block_count_x
      - .offset:         52
        .size:           4
        .value_kind:     hidden_block_count_y
      - .offset:         56
        .size:           4
        .value_kind:     hidden_block_count_z
      - .offset:         60
        .size:           2
        .value_kind:     hidden_group_size_x
      - .offset:         62
        .size:           2
        .value_kind:     hidden_group_size_y
      - .offset:         64
        .size:           2
        .value_kind:     hidden_group_size_z
      - .offset:         66
        .size:           2
        .value_kind:     hidden_remainder_x
      - .offset:         68
        .size:           2
        .value_kind:     hidden_remainder_y
      - .offset:         70
        .size:           2
        .value_kind:     hidden_remainder_z
      - .offset:         88
        .size:           8
        .value_kind:     hidden_global_offset_x
      - .offset:         96
        .size:           8
        .value_kind:     hidden_global_offset_y
      - .offset:         104
        .size:           8
        .value_kind:     hidden_global_offset_z
      - .offset:         112
        .size:           2
        .value_kind:     hidden_grid_dims
    .group_segment_fixed_size: 0
    .kernarg_segment_align: 8
    .kernarg_segment_size: 304
    .language:       OpenCL C
    .language_version:
      - 2
      - 0
    .max_flat_workgroup_size: 1024
    .name:           _ZN5aiter22opus_moe_sorting_entryINS_32MoeSortingMultiPhaseKernel_P0_v1INS_19MoeSortingProblemMpIifhLi4ELb0ELb1ELb1EEEEENS4_5KargsEEEvT0_
    .private_segment_fixed_size: 0
    .sgpr_count:     38
    .sgpr_spill_count: 0
    .symbol:         _ZN5aiter22opus_moe_sorting_entryINS_32MoeSortingMultiPhaseKernel_P0_v1INS_19MoeSortingProblemMpIifhLi4ELb0ELb1ELb1EEEEENS4_5KargsEEEvT0_.kd
    .uniform_work_group_size: 1
    .uses_dynamic_stack: false
    .vgpr_count:     34
    .vgpr_spill_count: 0
    .wavefront_size: 32
    .workgroup_processor_mode: 1
  - .args:
      - .offset:         0
        .size:           40
        .value_kind:     by_value
    .group_segment_fixed_size: 32
    .kernarg_segment_align: 8
    .kernarg_segment_size: 40
    .language:       OpenCL C
    .language_version:
      - 2
      - 0
    .max_flat_workgroup_size: 1024
    .name:           _ZN5aiter22opus_moe_sorting_entryINS_29MoeSortingMultiPhaseKernel_P1INS_19MoeSortingProblemMpIifhLi16ELb0ELb1ELb1EEEEENS4_5KargsEEEvT0_
    .private_segment_fixed_size: 0
    .sgpr_count:     18
    .sgpr_spill_count: 0
    .symbol:         _ZN5aiter22opus_moe_sorting_entryINS_29MoeSortingMultiPhaseKernel_P1INS_19MoeSortingProblemMpIifhLi16ELb0ELb1ELb1EEEEENS4_5KargsEEEvT0_.kd
    .uniform_work_group_size: 1
    .uses_dynamic_stack: false
    .vgpr_count:     20
    .vgpr_spill_count: 0
    .wavefront_size: 32
    .workgroup_processor_mode: 1
  - .args:
      - .offset:         0
        .size:           48
        .value_kind:     by_value
      - .offset:         48
        .size:           4
        .value_kind:     hidden_block_count_x
      - .offset:         52
        .size:           4
        .value_kind:     hidden_block_count_y
      - .offset:         56
        .size:           4
        .value_kind:     hidden_block_count_z
      - .offset:         60
        .size:           2
        .value_kind:     hidden_group_size_x
      - .offset:         62
        .size:           2
        .value_kind:     hidden_group_size_y
      - .offset:         64
        .size:           2
        .value_kind:     hidden_group_size_z
      - .offset:         66
        .size:           2
        .value_kind:     hidden_remainder_x
      - .offset:         68
        .size:           2
        .value_kind:     hidden_remainder_y
      - .offset:         70
        .size:           2
        .value_kind:     hidden_remainder_z
      - .offset:         88
        .size:           8
        .value_kind:     hidden_global_offset_x
      - .offset:         96
        .size:           8
        .value_kind:     hidden_global_offset_y
      - .offset:         104
        .size:           8
        .value_kind:     hidden_global_offset_z
      - .offset:         112
        .size:           2
        .value_kind:     hidden_grid_dims
    .group_segment_fixed_size: 0
    .kernarg_segment_align: 8
    .kernarg_segment_size: 304
    .language:       OpenCL C
    .language_version:
      - 2
      - 0
    .max_flat_workgroup_size: 1024
    .name:           _ZN5aiter22opus_moe_sorting_entryINS_32MoeSortingMultiPhaseKernel_P0_v1INS_19MoeSortingProblemMpIifhLi4ELb0ELb0ELb1EEEEENS4_5KargsEEEvT0_
    .private_segment_fixed_size: 0
    .sgpr_count:     36
    .sgpr_spill_count: 0
    .symbol:         _ZN5aiter22opus_moe_sorting_entryINS_32MoeSortingMultiPhaseKernel_P0_v1INS_19MoeSortingProblemMpIifhLi4ELb0ELb0ELb1EEEEENS4_5KargsEEEvT0_.kd
    .uniform_work_group_size: 1
    .uses_dynamic_stack: false
    .vgpr_count:     33
    .vgpr_spill_count: 0
    .wavefront_size: 32
    .workgroup_processor_mode: 1
  - .args:
      - .offset:         0
        .size:           40
        .value_kind:     by_value
    .group_segment_fixed_size: 32
    .kernarg_segment_align: 8
    .kernarg_segment_size: 40
    .language:       OpenCL C
    .language_version:
      - 2
      - 0
    .max_flat_workgroup_size: 1024
    .name:           _ZN5aiter22opus_moe_sorting_entryINS_29MoeSortingMultiPhaseKernel_P1INS_19MoeSortingProblemMpIifhLi16ELb0ELb0ELb1EEEEENS4_5KargsEEEvT0_
    .private_segment_fixed_size: 0
    .sgpr_count:     18
    .sgpr_spill_count: 0
    .symbol:         _ZN5aiter22opus_moe_sorting_entryINS_29MoeSortingMultiPhaseKernel_P1INS_19MoeSortingProblemMpIifhLi16ELb0ELb0ELb1EEEEENS4_5KargsEEEvT0_.kd
    .uniform_work_group_size: 1
    .uses_dynamic_stack: false
    .vgpr_count:     20
    .vgpr_spill_count: 0
    .wavefront_size: 32
    .workgroup_processor_mode: 1
  - .args:
      - .offset:         0
        .size:           48
        .value_kind:     by_value
      - .offset:         48
        .size:           4
        .value_kind:     hidden_block_count_x
      - .offset:         52
        .size:           4
        .value_kind:     hidden_block_count_y
      - .offset:         56
        .size:           4
        .value_kind:     hidden_block_count_z
      - .offset:         60
        .size:           2
        .value_kind:     hidden_group_size_x
      - .offset:         62
        .size:           2
        .value_kind:     hidden_group_size_y
      - .offset:         64
        .size:           2
        .value_kind:     hidden_group_size_z
      - .offset:         66
        .size:           2
        .value_kind:     hidden_remainder_x
      - .offset:         68
        .size:           2
        .value_kind:     hidden_remainder_y
      - .offset:         70
        .size:           2
        .value_kind:     hidden_remainder_z
      - .offset:         88
        .size:           8
        .value_kind:     hidden_global_offset_x
      - .offset:         96
        .size:           8
        .value_kind:     hidden_global_offset_y
      - .offset:         104
        .size:           8
        .value_kind:     hidden_global_offset_z
      - .offset:         112
        .size:           2
        .value_kind:     hidden_grid_dims
    .group_segment_fixed_size: 0
    .kernarg_segment_align: 8
    .kernarg_segment_size: 304
    .language:       OpenCL C
    .language_version:
      - 2
      - 0
    .max_flat_workgroup_size: 1024
    .name:           _ZN5aiter22opus_moe_sorting_entryINS_32MoeSortingMultiPhaseKernel_P0_v1INS_19MoeSortingProblemMpIifhLi1ELb1ELb1ELb1EEEEENS4_5KargsEEEvT0_
    .private_segment_fixed_size: 0
    .sgpr_count:     18
    .sgpr_spill_count: 0
    .symbol:         _ZN5aiter22opus_moe_sorting_entryINS_32MoeSortingMultiPhaseKernel_P0_v1INS_19MoeSortingProblemMpIifhLi1ELb1ELb1ELb1EEEEENS4_5KargsEEEvT0_.kd
    .uniform_work_group_size: 1
    .uses_dynamic_stack: false
    .vgpr_count:     6
    .vgpr_spill_count: 0
    .wavefront_size: 32
    .workgroup_processor_mode: 1
  - .args:
      - .offset:         0
        .size:           48
        .value_kind:     by_value
      - .offset:         48
        .size:           4
        .value_kind:     hidden_block_count_x
      - .offset:         52
        .size:           4
        .value_kind:     hidden_block_count_y
      - .offset:         56
        .size:           4
        .value_kind:     hidden_block_count_z
      - .offset:         60
        .size:           2
        .value_kind:     hidden_group_size_x
      - .offset:         62
        .size:           2
        .value_kind:     hidden_group_size_y
      - .offset:         64
        .size:           2
        .value_kind:     hidden_group_size_z
      - .offset:         66
        .size:           2
        .value_kind:     hidden_remainder_x
      - .offset:         68
        .size:           2
        .value_kind:     hidden_remainder_y
      - .offset:         70
        .size:           2
        .value_kind:     hidden_remainder_z
      - .offset:         88
        .size:           8
        .value_kind:     hidden_global_offset_x
      - .offset:         96
        .size:           8
        .value_kind:     hidden_global_offset_y
      - .offset:         104
        .size:           8
        .value_kind:     hidden_global_offset_z
      - .offset:         112
        .size:           2
        .value_kind:     hidden_grid_dims
    .group_segment_fixed_size: 0
    .kernarg_segment_align: 8
    .kernarg_segment_size: 304
    .language:       OpenCL C
    .language_version:
      - 2
      - 0
    .max_flat_workgroup_size: 1024
    .name:           _ZN5aiter22opus_moe_sorting_entryINS_32MoeSortingMultiPhaseKernel_P0_v1INS_19MoeSortingProblemMpIifhLi1ELb1ELb0ELb1EEEEENS4_5KargsEEEvT0_
    .private_segment_fixed_size: 0
    .sgpr_count:     18
    .sgpr_spill_count: 0
    .symbol:         _ZN5aiter22opus_moe_sorting_entryINS_32MoeSortingMultiPhaseKernel_P0_v1INS_19MoeSortingProblemMpIifhLi1ELb1ELb0ELb1EEEEENS4_5KargsEEEvT0_.kd
    .uniform_work_group_size: 1
    .uses_dynamic_stack: false
    .vgpr_count:     6
    .vgpr_spill_count: 0
    .wavefront_size: 32
    .workgroup_processor_mode: 1
  - .args:
      - .offset:         0
        .size:           48
        .value_kind:     by_value
      - .offset:         48
        .size:           4
        .value_kind:     hidden_block_count_x
      - .offset:         52
        .size:           4
        .value_kind:     hidden_block_count_y
      - .offset:         56
        .size:           4
        .value_kind:     hidden_block_count_z
      - .offset:         60
        .size:           2
        .value_kind:     hidden_group_size_x
      - .offset:         62
        .size:           2
        .value_kind:     hidden_group_size_y
      - .offset:         64
        .size:           2
        .value_kind:     hidden_group_size_z
      - .offset:         66
        .size:           2
        .value_kind:     hidden_remainder_x
      - .offset:         68
        .size:           2
        .value_kind:     hidden_remainder_y
      - .offset:         70
        .size:           2
        .value_kind:     hidden_remainder_z
      - .offset:         88
        .size:           8
        .value_kind:     hidden_global_offset_x
      - .offset:         96
        .size:           8
        .value_kind:     hidden_global_offset_y
      - .offset:         104
        .size:           8
        .value_kind:     hidden_global_offset_z
      - .offset:         112
        .size:           2
        .value_kind:     hidden_grid_dims
    .group_segment_fixed_size: 0
    .kernarg_segment_align: 8
    .kernarg_segment_size: 304
    .language:       OpenCL C
    .language_version:
      - 2
      - 0
    .max_flat_workgroup_size: 1024
    .name:           _ZN5aiter22opus_moe_sorting_entryINS_32MoeSortingMultiPhaseKernel_P0_v1INS_19MoeSortingProblemMpIifhLi1ELb0ELb1ELb1EEEEENS4_5KargsEEEvT0_
    .private_segment_fixed_size: 0
    .sgpr_count:     18
    .sgpr_spill_count: 0
    .symbol:         _ZN5aiter22opus_moe_sorting_entryINS_32MoeSortingMultiPhaseKernel_P0_v1INS_19MoeSortingProblemMpIifhLi1ELb0ELb1ELb1EEEEENS4_5KargsEEEvT0_.kd
    .uniform_work_group_size: 1
    .uses_dynamic_stack: false
    .vgpr_count:     6
    .vgpr_spill_count: 0
    .wavefront_size: 32
    .workgroup_processor_mode: 1
  - .args:
      - .offset:         0
        .size:           48
        .value_kind:     by_value
      - .offset:         48
        .size:           4
        .value_kind:     hidden_block_count_x
      - .offset:         52
        .size:           4
        .value_kind:     hidden_block_count_y
      - .offset:         56
        .size:           4
        .value_kind:     hidden_block_count_z
      - .offset:         60
        .size:           2
        .value_kind:     hidden_group_size_x
      - .offset:         62
        .size:           2
        .value_kind:     hidden_group_size_y
      - .offset:         64
        .size:           2
        .value_kind:     hidden_group_size_z
      - .offset:         66
        .size:           2
        .value_kind:     hidden_remainder_x
      - .offset:         68
        .size:           2
        .value_kind:     hidden_remainder_y
      - .offset:         70
        .size:           2
        .value_kind:     hidden_remainder_z
      - .offset:         88
        .size:           8
        .value_kind:     hidden_global_offset_x
      - .offset:         96
        .size:           8
        .value_kind:     hidden_global_offset_y
      - .offset:         104
        .size:           8
        .value_kind:     hidden_global_offset_z
      - .offset:         112
        .size:           2
        .value_kind:     hidden_grid_dims
    .group_segment_fixed_size: 0
    .kernarg_segment_align: 8
    .kernarg_segment_size: 304
    .language:       OpenCL C
    .language_version:
      - 2
      - 0
    .max_flat_workgroup_size: 1024
    .name:           _ZN5aiter22opus_moe_sorting_entryINS_32MoeSortingMultiPhaseKernel_P0_v1INS_19MoeSortingProblemMpIifhLi1ELb0ELb0ELb1EEEEENS4_5KargsEEEvT0_
    .private_segment_fixed_size: 0
    .sgpr_count:     18
    .sgpr_spill_count: 0
    .symbol:         _ZN5aiter22opus_moe_sorting_entryINS_32MoeSortingMultiPhaseKernel_P0_v1INS_19MoeSortingProblemMpIifhLi1ELb0ELb0ELb1EEEEENS4_5KargsEEEvT0_.kd
    .uniform_work_group_size: 1
    .uses_dynamic_stack: false
    .vgpr_count:     6
    .vgpr_spill_count: 0
    .wavefront_size: 32
    .workgroup_processor_mode: 1
  - .args:
      - .offset:         0
        .size:           48
        .value_kind:     by_value
      - .offset:         48
        .size:           4
        .value_kind:     hidden_block_count_x
      - .offset:         52
        .size:           4
        .value_kind:     hidden_block_count_y
      - .offset:         56
        .size:           4
        .value_kind:     hidden_block_count_z
      - .offset:         60
        .size:           2
        .value_kind:     hidden_group_size_x
      - .offset:         62
        .size:           2
        .value_kind:     hidden_group_size_y
      - .offset:         64
        .size:           2
        .value_kind:     hidden_group_size_z
      - .offset:         66
        .size:           2
        .value_kind:     hidden_remainder_x
      - .offset:         68
        .size:           2
        .value_kind:     hidden_remainder_y
      - .offset:         70
        .size:           2
        .value_kind:     hidden_remainder_z
      - .offset:         88
        .size:           8
        .value_kind:     hidden_global_offset_x
      - .offset:         96
        .size:           8
        .value_kind:     hidden_global_offset_y
      - .offset:         104
        .size:           8
        .value_kind:     hidden_global_offset_z
      - .offset:         112
        .size:           2
        .value_kind:     hidden_grid_dims
    .group_segment_fixed_size: 0
    .kernarg_segment_align: 8
    .kernarg_segment_size: 304
    .language:       OpenCL C
    .language_version:
      - 2
      - 0
    .max_flat_workgroup_size: 1024
    .name:           _ZN5aiter22opus_moe_sorting_entryINS_32MoeSortingMultiPhaseKernel_P0_v1INS_19MoeSortingProblemMpIifiLi1ELb1ELb1ELb1EEEEENS4_5KargsEEEvT0_
    .private_segment_fixed_size: 0
    .sgpr_count:     18
    .sgpr_spill_count: 0
    .symbol:         _ZN5aiter22opus_moe_sorting_entryINS_32MoeSortingMultiPhaseKernel_P0_v1INS_19MoeSortingProblemMpIifiLi1ELb1ELb1ELb1EEEEENS4_5KargsEEEvT0_.kd
    .uniform_work_group_size: 1
    .uses_dynamic_stack: false
    .vgpr_count:     7
    .vgpr_spill_count: 0
    .wavefront_size: 32
    .workgroup_processor_mode: 1
  - .args:
      - .offset:         0
        .size:           40
        .value_kind:     by_value
    .group_segment_fixed_size: 32
    .kernarg_segment_align: 8
    .kernarg_segment_size: 40
    .language:       OpenCL C
    .language_version:
      - 2
      - 0
    .max_flat_workgroup_size: 1024
    .name:           _ZN5aiter22opus_moe_sorting_entryINS_29MoeSortingMultiPhaseKernel_P1INS_19MoeSortingProblemMpIifiLi1ELb1ELb1ELb1EEEEENS4_5KargsEEEvT0_
    .private_segment_fixed_size: 0
    .sgpr_count:     18
    .sgpr_spill_count: 0
    .symbol:         _ZN5aiter22opus_moe_sorting_entryINS_29MoeSortingMultiPhaseKernel_P1INS_19MoeSortingProblemMpIifiLi1ELb1ELb1ELb1EEEEENS4_5KargsEEEvT0_.kd
    .uniform_work_group_size: 1
    .uses_dynamic_stack: false
    .vgpr_count:     11
    .vgpr_spill_count: 0
    .wavefront_size: 32
    .workgroup_processor_mode: 1
  - .args:
      - .offset:         0
        .size:           48
        .value_kind:     by_value
      - .offset:         48
        .size:           4
        .value_kind:     hidden_block_count_x
      - .offset:         52
        .size:           4
        .value_kind:     hidden_block_count_y
      - .offset:         56
        .size:           4
        .value_kind:     hidden_block_count_z
      - .offset:         60
        .size:           2
        .value_kind:     hidden_group_size_x
      - .offset:         62
        .size:           2
        .value_kind:     hidden_group_size_y
      - .offset:         64
        .size:           2
        .value_kind:     hidden_group_size_z
      - .offset:         66
        .size:           2
        .value_kind:     hidden_remainder_x
      - .offset:         68
        .size:           2
        .value_kind:     hidden_remainder_y
      - .offset:         70
        .size:           2
        .value_kind:     hidden_remainder_z
      - .offset:         88
        .size:           8
        .value_kind:     hidden_global_offset_x
      - .offset:         96
        .size:           8
        .value_kind:     hidden_global_offset_y
      - .offset:         104
        .size:           8
        .value_kind:     hidden_global_offset_z
      - .offset:         112
        .size:           2
        .value_kind:     hidden_grid_dims
    .group_segment_fixed_size: 0
    .kernarg_segment_align: 8
    .kernarg_segment_size: 304
    .language:       OpenCL C
    .language_version:
      - 2
      - 0
    .max_flat_workgroup_size: 1024
    .name:           _ZN5aiter22opus_moe_sorting_entryINS_32MoeSortingMultiPhaseKernel_P0_v1INS_19MoeSortingProblemMpIifiLi1ELb1ELb0ELb1EEEEENS4_5KargsEEEvT0_
    .private_segment_fixed_size: 0
    .sgpr_count:     18
    .sgpr_spill_count: 0
    .symbol:         _ZN5aiter22opus_moe_sorting_entryINS_32MoeSortingMultiPhaseKernel_P0_v1INS_19MoeSortingProblemMpIifiLi1ELb1ELb0ELb1EEEEENS4_5KargsEEEvT0_.kd
    .uniform_work_group_size: 1
    .uses_dynamic_stack: false
    .vgpr_count:     7
    .vgpr_spill_count: 0
    .wavefront_size: 32
    .workgroup_processor_mode: 1
  - .args:
      - .offset:         0
        .size:           40
        .value_kind:     by_value
    .group_segment_fixed_size: 32
    .kernarg_segment_align: 8
    .kernarg_segment_size: 40
    .language:       OpenCL C
    .language_version:
      - 2
      - 0
    .max_flat_workgroup_size: 1024
    .name:           _ZN5aiter22opus_moe_sorting_entryINS_29MoeSortingMultiPhaseKernel_P1INS_19MoeSortingProblemMpIifiLi1ELb1ELb0ELb1EEEEENS4_5KargsEEEvT0_
    .private_segment_fixed_size: 0
    .sgpr_count:     18
    .sgpr_spill_count: 0
    .symbol:         _ZN5aiter22opus_moe_sorting_entryINS_29MoeSortingMultiPhaseKernel_P1INS_19MoeSortingProblemMpIifiLi1ELb1ELb0ELb1EEEEENS4_5KargsEEEvT0_.kd
    .uniform_work_group_size: 1
    .uses_dynamic_stack: false
    .vgpr_count:     11
    .vgpr_spill_count: 0
    .wavefront_size: 32
    .workgroup_processor_mode: 1
  - .args:
      - .offset:         0
        .size:           48
        .value_kind:     by_value
      - .offset:         48
        .size:           4
        .value_kind:     hidden_block_count_x
      - .offset:         52
        .size:           4
        .value_kind:     hidden_block_count_y
      - .offset:         56
        .size:           4
        .value_kind:     hidden_block_count_z
      - .offset:         60
        .size:           2
        .value_kind:     hidden_group_size_x
      - .offset:         62
        .size:           2
        .value_kind:     hidden_group_size_y
      - .offset:         64
        .size:           2
        .value_kind:     hidden_group_size_z
      - .offset:         66
        .size:           2
        .value_kind:     hidden_remainder_x
      - .offset:         68
        .size:           2
        .value_kind:     hidden_remainder_y
      - .offset:         70
        .size:           2
        .value_kind:     hidden_remainder_z
      - .offset:         88
        .size:           8
        .value_kind:     hidden_global_offset_x
      - .offset:         96
        .size:           8
        .value_kind:     hidden_global_offset_y
      - .offset:         104
        .size:           8
        .value_kind:     hidden_global_offset_z
      - .offset:         112
        .size:           2
        .value_kind:     hidden_grid_dims
    .group_segment_fixed_size: 0
    .kernarg_segment_align: 8
    .kernarg_segment_size: 304
    .language:       OpenCL C
    .language_version:
      - 2
      - 0
    .max_flat_workgroup_size: 1024
    .name:           _ZN5aiter22opus_moe_sorting_entryINS_32MoeSortingMultiPhaseKernel_P0_v1INS_19MoeSortingProblemMpIifiLi1ELb0ELb1ELb1EEEEENS4_5KargsEEEvT0_
    .private_segment_fixed_size: 0
    .sgpr_count:     18
    .sgpr_spill_count: 0
    .symbol:         _ZN5aiter22opus_moe_sorting_entryINS_32MoeSortingMultiPhaseKernel_P0_v1INS_19MoeSortingProblemMpIifiLi1ELb0ELb1ELb1EEEEENS4_5KargsEEEvT0_.kd
    .uniform_work_group_size: 1
    .uses_dynamic_stack: false
    .vgpr_count:     7
    .vgpr_spill_count: 0
    .wavefront_size: 32
    .workgroup_processor_mode: 1
  - .args:
      - .offset:         0
        .size:           40
        .value_kind:     by_value
    .group_segment_fixed_size: 32
    .kernarg_segment_align: 8
    .kernarg_segment_size: 40
    .language:       OpenCL C
    .language_version:
      - 2
      - 0
    .max_flat_workgroup_size: 1024
    .name:           _ZN5aiter22opus_moe_sorting_entryINS_29MoeSortingMultiPhaseKernel_P1INS_19MoeSortingProblemMpIifiLi1ELb0ELb1ELb1EEEEENS4_5KargsEEEvT0_
    .private_segment_fixed_size: 0
    .sgpr_count:     18
    .sgpr_spill_count: 0
    .symbol:         _ZN5aiter22opus_moe_sorting_entryINS_29MoeSortingMultiPhaseKernel_P1INS_19MoeSortingProblemMpIifiLi1ELb0ELb1ELb1EEEEENS4_5KargsEEEvT0_.kd
    .uniform_work_group_size: 1
    .uses_dynamic_stack: false
    .vgpr_count:     11
    .vgpr_spill_count: 0
    .wavefront_size: 32
    .workgroup_processor_mode: 1
  - .args:
      - .offset:         0
        .size:           48
        .value_kind:     by_value
      - .offset:         48
        .size:           4
        .value_kind:     hidden_block_count_x
      - .offset:         52
        .size:           4
        .value_kind:     hidden_block_count_y
      - .offset:         56
        .size:           4
        .value_kind:     hidden_block_count_z
      - .offset:         60
        .size:           2
        .value_kind:     hidden_group_size_x
      - .offset:         62
        .size:           2
        .value_kind:     hidden_group_size_y
      - .offset:         64
        .size:           2
        .value_kind:     hidden_group_size_z
      - .offset:         66
        .size:           2
        .value_kind:     hidden_remainder_x
      - .offset:         68
        .size:           2
        .value_kind:     hidden_remainder_y
      - .offset:         70
        .size:           2
        .value_kind:     hidden_remainder_z
      - .offset:         88
        .size:           8
        .value_kind:     hidden_global_offset_x
      - .offset:         96
        .size:           8
        .value_kind:     hidden_global_offset_y
      - .offset:         104
        .size:           8
        .value_kind:     hidden_global_offset_z
      - .offset:         112
        .size:           2
        .value_kind:     hidden_grid_dims
    .group_segment_fixed_size: 0
    .kernarg_segment_align: 8
    .kernarg_segment_size: 304
    .language:       OpenCL C
    .language_version:
      - 2
      - 0
    .max_flat_workgroup_size: 1024
    .name:           _ZN5aiter22opus_moe_sorting_entryINS_32MoeSortingMultiPhaseKernel_P0_v1INS_19MoeSortingProblemMpIifiLi1ELb0ELb0ELb1EEEEENS4_5KargsEEEvT0_
    .private_segment_fixed_size: 0
    .sgpr_count:     18
    .sgpr_spill_count: 0
    .symbol:         _ZN5aiter22opus_moe_sorting_entryINS_32MoeSortingMultiPhaseKernel_P0_v1INS_19MoeSortingProblemMpIifiLi1ELb0ELb0ELb1EEEEENS4_5KargsEEEvT0_.kd
    .uniform_work_group_size: 1
    .uses_dynamic_stack: false
    .vgpr_count:     7
    .vgpr_spill_count: 0
    .wavefront_size: 32
    .workgroup_processor_mode: 1
  - .args:
      - .offset:         0
        .size:           40
        .value_kind:     by_value
    .group_segment_fixed_size: 32
    .kernarg_segment_align: 8
    .kernarg_segment_size: 40
    .language:       OpenCL C
    .language_version:
      - 2
      - 0
    .max_flat_workgroup_size: 1024
    .name:           _ZN5aiter22opus_moe_sorting_entryINS_29MoeSortingMultiPhaseKernel_P1INS_19MoeSortingProblemMpIifiLi1ELb0ELb0ELb1EEEEENS4_5KargsEEEvT0_
    .private_segment_fixed_size: 0
    .sgpr_count:     18
    .sgpr_spill_count: 0
    .symbol:         _ZN5aiter22opus_moe_sorting_entryINS_29MoeSortingMultiPhaseKernel_P1INS_19MoeSortingProblemMpIifiLi1ELb0ELb0ELb1EEEEENS4_5KargsEEEvT0_.kd
    .uniform_work_group_size: 1
    .uses_dynamic_stack: false
    .vgpr_count:     11
    .vgpr_spill_count: 0
    .wavefront_size: 32
    .workgroup_processor_mode: 1
amdhsa.target:   amdgcn-amd-amdhsa--gfx1100
amdhsa.version:
  - 1
  - 2
...

	.end_amdgpu_metadata
